;; amdgpu-corpus repo=ROCm/rocFFT kind=compiled arch=gfx1201 opt=O3
	.text
	.amdgcn_target "amdgcn-amd-amdhsa--gfx1201"
	.amdhsa_code_object_version 6
	.protected	bluestein_single_back_len748_dim1_dp_op_CI_CI ; -- Begin function bluestein_single_back_len748_dim1_dp_op_CI_CI
	.globl	bluestein_single_back_len748_dim1_dp_op_CI_CI
	.p2align	8
	.type	bluestein_single_back_len748_dim1_dp_op_CI_CI,@function
bluestein_single_back_len748_dim1_dp_op_CI_CI: ; @bluestein_single_back_len748_dim1_dp_op_CI_CI
; %bb.0:
	s_load_b128 s[4:7], s[0:1], 0x28
	v_mul_u32_u24_e32 v1, 0x3c4, v0
	s_mov_b32 s2, exec_lo
	s_delay_alu instid0(VALU_DEP_1) | instskip(NEXT) | instid1(VALU_DEP_1)
	v_lshrrev_b32_e32 v1, 16, v1
	v_mad_co_u64_u32 v[160:161], null, ttmp9, 3, v[1:2]
	v_mov_b32_e32 v161, 0
                                        ; kill: def $vgpr2 killed $sgpr0 killed $exec
	s_wait_kmcnt 0x0
	s_delay_alu instid0(VALU_DEP_1)
	v_cmpx_gt_u64_e64 s[4:5], v[160:161]
	s_cbranch_execz .LBB0_23
; %bb.1:
	v_mul_hi_u32 v2, 0xaaaaaaab, v160
	v_mul_lo_u16 v1, 0x44, v1
	s_clause 0x1
	s_load_b64 s[12:13], s[0:1], 0x0
	s_load_b64 s[14:15], s[0:1], 0x38
	s_delay_alu instid0(VALU_DEP_1) | instskip(NEXT) | instid1(VALU_DEP_3)
	v_sub_nc_u16 v0, v0, v1
	v_lshrrev_b32_e32 v2, 1, v2
	s_delay_alu instid0(VALU_DEP_2) | instskip(SKIP_1) | instid1(VALU_DEP_3)
	v_and_b32_e32 v173, 0xffff, v0
	v_cmp_gt_u16_e32 vcc_lo, 44, v0
	v_lshl_add_u32 v2, v2, 1, v2
	s_delay_alu instid0(VALU_DEP_3) | instskip(NEXT) | instid1(VALU_DEP_2)
	v_lshlrev_b32_e32 v255, 4, v173
	v_sub_nc_u32_e32 v1, v160, v2
	s_delay_alu instid0(VALU_DEP_1) | instskip(NEXT) | instid1(VALU_DEP_1)
	v_mul_u32_u24_e32 v235, 0x2ec, v1
	v_lshlrev_b32_e32 v0, 4, v235
	scratch_store_b32 off, v0, off offset:4 ; 4-byte Folded Spill
	v_or_b32_e32 v0, 0x2c0, v173
	scratch_store_b32 off, v0, off offset:128 ; 4-byte Folded Spill
	s_and_saveexec_b32 s3, vcc_lo
	s_cbranch_execz .LBB0_3
; %bb.2:
	s_load_b64 s[4:5], s[0:1], 0x18
	v_or_b32_e32 v66, 0x2c0, v173
	s_wait_kmcnt 0x0
	s_load_b128 s[8:11], s[4:5], 0x0
	s_clause 0x7
	global_load_b128 v[0:3], v255, s[12:13]
	global_load_b128 v[4:7], v255, s[12:13] offset:704
	global_load_b128 v[8:11], v255, s[12:13] offset:1408
	;; [unrolled: 1-line block ×7, first 2 shown]
	s_wait_kmcnt 0x0
	v_mad_co_u64_u32 v[56:57], null, s10, v160, 0
	v_mad_co_u64_u32 v[60:61], null, s8, v173, 0
	;; [unrolled: 1-line block ×3, first 2 shown]
	s_mul_u64 s[4:5], s[8:9], 0x2c0
	s_delay_alu instid0(VALU_DEP_2) | instskip(NEXT) | instid1(VALU_DEP_1)
	v_dual_mov_b32 v32, v57 :: v_dual_mov_b32 v33, v61
	v_mad_co_u64_u32 v[48:49], null, s11, v160, v[32:33]
	v_mad_co_u64_u32 v[58:59], null, s9, v173, v[33:34]
	s_clause 0x3
	global_load_b128 v[32:35], v255, s[12:13] offset:5632
	global_load_b128 v[36:39], v255, s[12:13] offset:6336
	;; [unrolled: 1-line block ×4, first 2 shown]
	v_mov_b32_e32 v57, v48
	s_clause 0x1
	global_load_b128 v[48:51], v255, s[12:13] offset:8448
	global_load_b128 v[52:55], v255, s[12:13] offset:9152
	v_mov_b32_e32 v61, v58
	v_lshlrev_b64_e32 v[64:65], 4, v[56:57]
	global_load_b128 v[56:59], v255, s[12:13] offset:11264
	v_lshlrev_b64_e32 v[60:61], 4, v[60:61]
	v_mad_co_u64_u32 v[66:67], null, s9, v66, v[63:64]
	v_add_co_u32 v67, s2, s6, v64
	s_delay_alu instid0(VALU_DEP_1) | instskip(NEXT) | instid1(VALU_DEP_2)
	v_add_co_ci_u32_e64 v70, s2, s7, v65, s2
	v_add_co_u32 v64, s2, v67, v60
	s_wait_alu 0xf1ff
	s_delay_alu instid0(VALU_DEP_2)
	v_add_co_ci_u32_e64 v65, s2, v70, v61, s2
	v_mov_b32_e32 v63, v66
	s_wait_alu 0xfffe
	v_add_co_u32 v68, s2, v64, s4
	s_wait_alu 0xf1ff
	v_add_co_ci_u32_e64 v69, s2, s5, v65, s2
	v_lshlrev_b64_e32 v[60:61], 4, v[62:63]
	s_delay_alu instid0(VALU_DEP_3) | instskip(SKIP_1) | instid1(VALU_DEP_3)
	v_add_co_u32 v72, s2, v68, s4
	s_wait_alu 0xf1ff
	v_add_co_ci_u32_e64 v73, s2, s5, v69, s2
	s_delay_alu instid0(VALU_DEP_3)
	v_add_co_u32 v60, s2, v67, v60
	s_wait_alu 0xf1ff
	v_add_co_ci_u32_e64 v61, s2, v70, v61, s2
	v_add_co_u32 v76, s2, v72, s4
	s_wait_alu 0xf1ff
	v_add_co_ci_u32_e64 v77, s2, s5, v73, s2
	global_load_b128 v[60:63], v[60:61], off
	v_add_co_u32 v80, s2, v76, s4
	s_wait_alu 0xf1ff
	v_add_co_ci_u32_e64 v81, s2, s5, v77, s2
	s_clause 0x1
	global_load_b128 v[64:67], v[64:65], off
	global_load_b128 v[68:71], v[68:69], off
	v_add_co_u32 v84, s2, v80, s4
	s_wait_alu 0xf1ff
	v_add_co_ci_u32_e64 v85, s2, s5, v81, s2
	s_clause 0x1
	global_load_b128 v[72:75], v[72:73], off
	global_load_b128 v[76:79], v[76:77], off
	v_add_co_u32 v88, s2, v84, s4
	s_wait_alu 0xf1ff
	v_add_co_ci_u32_e64 v89, s2, s5, v85, s2
	global_load_b128 v[80:83], v[80:81], off
	v_add_co_u32 v92, s2, v88, s4
	s_wait_alu 0xf1ff
	v_add_co_ci_u32_e64 v93, s2, s5, v89, s2
	;; [unrolled: 4-line block ×10, first 2 shown]
	global_load_b128 v[116:119], v[116:117], off
	global_load_b128 v[120:123], v[120:121], off
	s_clause 0x1
	global_load_b128 v[124:127], v255, s[12:13] offset:9856
	global_load_b128 v[128:131], v255, s[12:13] offset:10560
	global_load_b128 v[132:135], v[132:133], off
	s_wait_loadcnt 0x12
	v_mul_f64_e32 v[138:139], v[62:63], v[58:59]
	v_mul_f64_e32 v[171:172], v[60:61], v[58:59]
	s_wait_loadcnt 0x11
	v_mul_f64_e32 v[136:137], v[66:67], v[2:3]
	v_mul_f64_e32 v[2:3], v[64:65], v[2:3]
	;; [unrolled: 3-line block ×11, first 2 shown]
	v_fma_f64 v[64:65], v[64:65], v[0:1], v[136:137]
	v_fma_f64 v[66:67], v[66:67], v[0:1], -v[2:3]
	v_fma_f64 v[0:1], v[60:61], v[56:57], v[138:139]
	s_wait_loadcnt 0x7
	v_mul_f64_e32 v[158:159], v[106:107], v[42:43]
	v_mul_f64_e32 v[42:43], v[104:105], v[42:43]
	v_fma_f64 v[58:59], v[68:69], v[4:5], v[140:141]
	v_fma_f64 v[60:61], v[70:71], v[4:5], -v[6:7]
	v_fma_f64 v[4:5], v[72:73], v[8:9], v[142:143]
	s_wait_loadcnt 0x6
	v_mul_f64_e32 v[161:162], v[110:111], v[46:47]
	v_mul_f64_e32 v[46:47], v[108:109], v[46:47]
	v_fma_f64 v[6:7], v[74:75], v[8:9], -v[10:11]
	v_fma_f64 v[8:9], v[76:77], v[12:13], v[144:145]
	v_fma_f64 v[10:11], v[78:79], v[12:13], -v[14:15]
	s_wait_loadcnt 0x5
	v_mul_f64_e32 v[163:164], v[114:115], v[50:51]
	v_mul_f64_e32 v[50:51], v[112:113], v[50:51]
	s_wait_loadcnt 0x4
	v_mul_f64_e32 v[165:166], v[118:119], v[54:55]
	v_mul_f64_e32 v[54:55], v[116:117], v[54:55]
	s_wait_loadcnt 0x2
	v_mul_f64_e32 v[167:168], v[122:123], v[126:127]
	v_mul_f64_e32 v[126:127], v[120:121], v[126:127]
	s_wait_loadcnt 0x0
	v_mul_f64_e32 v[169:170], v[134:135], v[130:131]
	v_mul_f64_e32 v[130:131], v[132:133], v[130:131]
	v_fma_f64 v[12:13], v[80:81], v[16:17], v[146:147]
	v_fma_f64 v[14:15], v[82:83], v[16:17], -v[18:19]
	v_fma_f64 v[16:17], v[84:85], v[20:21], v[148:149]
	v_fma_f64 v[18:19], v[86:87], v[20:21], -v[22:23]
	;; [unrolled: 2-line block ×4, first 2 shown]
	v_fma_f64 v[2:3], v[62:63], v[56:57], -v[171:172]
	v_lshlrev_b32_e32 v57, 4, v235
	v_fma_f64 v[28:29], v[96:97], v[32:33], v[154:155]
	v_fma_f64 v[30:31], v[98:99], v[32:33], -v[34:35]
	s_delay_alu instid0(VALU_DEP_3)
	v_lshl_add_u32 v56, v173, 4, v57
	v_fma_f64 v[32:33], v[100:101], v[36:37], v[156:157]
	v_fma_f64 v[34:35], v[102:103], v[36:37], -v[38:39]
	v_add_nc_u32_e32 v57, v57, v255
	v_fma_f64 v[36:37], v[104:105], v[40:41], v[158:159]
	v_fma_f64 v[38:39], v[106:107], v[40:41], -v[42:43]
	v_fma_f64 v[40:41], v[108:109], v[44:45], v[161:162]
	v_fma_f64 v[42:43], v[110:111], v[44:45], -v[46:47]
	;; [unrolled: 2-line block ×6, first 2 shown]
	ds_store_b128 v56, v[64:67]
	ds_store_b128 v57, v[58:61] offset:704
	ds_store_b128 v57, v[4:7] offset:1408
	;; [unrolled: 1-line block ×16, first 2 shown]
.LBB0_3:
	s_or_b32 exec_lo, exec_lo, s3
	scratch_store_b32 off, v173, off        ; 4-byte Folded Spill
	global_wb scope:SCOPE_SE
	s_wait_storecnt_dscnt 0x0
	s_wait_kmcnt 0x0
	s_barrier_signal -1
	s_barrier_wait -1
	global_inv scope:SCOPE_SE
                                        ; implicit-def: $vgpr20_vgpr21
                                        ; implicit-def: $vgpr40_vgpr41
                                        ; implicit-def: $vgpr44_vgpr45
                                        ; implicit-def: $vgpr56_vgpr57
                                        ; implicit-def: $vgpr72_vgpr73
                                        ; implicit-def: $vgpr80_vgpr81
                                        ; implicit-def: $vgpr64_vgpr65
                                        ; implicit-def: $vgpr36_vgpr37
                                        ; implicit-def: $vgpr32_vgpr33
                                        ; implicit-def: $vgpr28_vgpr29
                                        ; implicit-def: $vgpr24_vgpr25
                                        ; implicit-def: $vgpr84_vgpr85
                                        ; implicit-def: $vgpr76_vgpr77
                                        ; implicit-def: $vgpr68_vgpr69
                                        ; implicit-def: $vgpr60_vgpr61
                                        ; implicit-def: $vgpr52_vgpr53
                                        ; implicit-def: $vgpr48_vgpr49
	s_and_saveexec_b32 s2, vcc_lo
	s_cbranch_execz .LBB0_5
; %bb.4:
	v_lshl_add_u32 v0, v235, 4, v255
	ds_load_b128 v[20:23], v0
	ds_load_b128 v[48:51], v0 offset:704
	ds_load_b128 v[52:55], v0 offset:1408
	;; [unrolled: 1-line block ×16, first 2 shown]
.LBB0_5:
	s_wait_alu 0xfffe
	s_or_b32 exec_lo, exec_lo, s2
	s_wait_dscnt 0x0
	v_add_f64_e64 v[2:3], v[50:51], -v[26:27]
	s_mov_b32 s40, 0x5d8e7cdc
	s_mov_b32 s41, 0xbfd71e95
	v_add_f64_e32 v[108:109], v[24:25], v[48:49]
	v_add_f64_e64 v[0:1], v[48:49], -v[24:25]
	v_add_f64_e64 v[114:115], v[54:55], -v[30:31]
	s_mov_b32 s4, 0x370991
	s_mov_b32 s46, 0x2a9d6da3
	;; [unrolled: 1-line block ×4, first 2 shown]
	v_add_f64_e32 v[110:111], v[26:27], v[50:51]
	v_add_f64_e32 v[104:105], v[28:29], v[52:53]
	v_add_f64_e64 v[112:113], v[52:53], -v[28:29]
	s_mov_b32 s6, 0x75d4884
	s_mov_b32 s7, 0x3fe7a5f6
	v_add_f64_e32 v[106:107], v[30:31], v[54:55]
	s_mov_b32 s42, 0xeb564b22
	s_mov_b32 s30, 0x4363dd80
	;; [unrolled: 1-line block ×22, first 2 shown]
	v_mul_f64_e32 v[4:5], s[40:41], v[2:3]
	v_mul_f64_e32 v[8:9], s[46:47], v[2:3]
	;; [unrolled: 1-line block ×13, first 2 shown]
	s_mov_b32 s51, 0x3fe0d888
	s_mov_b32 s50, s30
	v_mul_f64_e32 v[90:91], s[24:25], v[0:1]
	s_mov_b32 s20, 0x910ea3b9
	s_mov_b32 s21, 0xbfeb34fa
	v_mul_f64_e32 v[92:93], s[26:27], v[2:3]
	;; [unrolled: 3-line block ×5, first 2 shown]
	v_add_f64_e32 v[144:145], v[40:41], v[32:33]
	v_add_f64_e32 v[148:149], v[42:43], v[34:35]
	s_mov_b32 s39, 0x3fc7851a
	s_mov_b32 s38, s34
	v_add_f64_e32 v[177:178], v[44:45], v[36:37]
	v_add_f64_e32 v[181:182], v[46:47], v[38:39]
	s_mov_b32 s53, 0x3fe9895b
	s_mov_b32 s52, s26
	v_add_f64_e64 v[120:121], v[62:63], -v[66:67]
	v_add_f64_e32 v[209:210], v[64:65], v[60:61]
	scratch_store_b64 off, v[4:5], off offset:88 ; 8-byte Folded Spill
	s_wait_alu 0xfffe
	v_fma_f64 v[4:5], v[108:109], s[4:5], v[4:5]
	scratch_store_b64 off, v[8:9], off offset:112 ; 8-byte Folded Spill
	v_fma_f64 v[8:9], v[108:109], s[6:7], v[8:9]
	scratch_store_b64 off, v[6:7], off offset:96 ; 8-byte Folded Spill
	v_fma_f64 v[6:7], v[110:111], s[4:5], -v[6:7]
	scratch_store_b64 off, v[116:117], off offset:224 ; 8-byte Folded Spill
	v_fma_f64 v[116:117], v[104:105], s[6:7], v[116:117]
	scratch_store_b64 off, v[10:11], off offset:120 ; 8-byte Folded Spill
	v_fma_f64 v[10:11], v[110:111], s[6:7], -v[10:11]
	s_clause 0x6
	scratch_store_b64 off, v[96:97], off offset:240
	scratch_store_b64 off, v[98:99], off offset:248
	scratch_store_b64 off, v[118:119], off offset:232
	scratch_store_b64 off, v[12:13], off offset:136
	scratch_store_b64 off, v[14:15], off offset:152
	scratch_store_b64 off, v[16:17], off offset:168
	scratch_store_b64 off, v[18:19], off offset:184
	v_fma_f64 v[12:13], v[108:109], s[8:9], v[12:13]
	v_fma_f64 v[14:15], v[110:111], s[8:9], -v[14:15]
	v_fma_f64 v[16:17], v[108:109], s[10:11], v[16:17]
	v_fma_f64 v[18:19], v[110:111], s[10:11], -v[18:19]
	s_clause 0x3
	scratch_store_b64 off, v[88:89], off offset:192
	scratch_store_b64 off, v[90:91], off offset:200
	;; [unrolled: 1-line block ×4, first 2 shown]
	v_fma_f64 v[88:89], v[108:109], s[16:17], v[88:89]
	v_fma_f64 v[90:91], v[110:111], s[16:17], -v[90:91]
	v_fma_f64 v[92:93], v[108:109], s[18:19], v[92:93]
	v_fma_f64 v[94:95], v[110:111], s[18:19], -v[94:95]
	;; [unrolled: 2-line block ×3, first 2 shown]
	v_fma_f64 v[100:101], v[108:109], s[22:23], -v[2:3]
	v_fma_f64 v[2:3], v[108:109], s[22:23], v[2:3]
	v_fma_f64 v[102:103], v[110:111], s[22:23], v[0:1]
	v_fma_f64 v[0:1], v[110:111], s[22:23], -v[0:1]
	v_add_f64_e32 v[211:212], v[66:67], v[62:63]
	v_mul_f64_e32 v[249:250], s[36:37], v[120:121]
	v_mul_f64_e32 v[245:246], s[34:35], v[120:121]
	;; [unrolled: 1-line block ×3, first 2 shown]
	v_add_f64_e32 v[4:5], v[20:21], v[4:5]
	v_add_f64_e64 v[130:131], v[70:71], -v[82:83]
	v_add_f64_e32 v[8:9], v[20:21], v[8:9]
	v_add_f64_e32 v[239:240], v[80:81], v[68:69]
	;; [unrolled: 1-line block ×4, first 2 shown]
	v_add_f64_e64 v[165:166], v[58:59], -v[86:87]
	v_add_f64_e64 v[163:164], v[56:57], -v[84:85]
	v_add_f64_e32 v[10:11], v[22:23], v[10:11]
	v_add_f64_e64 v[227:228], v[72:73], -v[76:77]
	v_add_f64_e64 v[233:234], v[74:75], -v[78:79]
	s_load_b64 s[2:3], s[0:1], 0x20
	v_add_f64_e32 v[12:13], v[20:21], v[12:13]
	v_add_f64_e32 v[14:15], v[22:23], v[14:15]
	;; [unrolled: 1-line block ×15, first 2 shown]
	v_fma_f64 v[116:117], v[106:107], s[6:7], -v[118:119]
	v_mul_f64_e32 v[118:119], s[42:43], v[112:113]
	v_mul_f64_e32 v[150:151], s[48:49], v[130:131]
	;; [unrolled: 1-line block ×23, first 2 shown]
	v_add_f64_e32 v[6:7], v[116:117], v[6:7]
	v_mul_f64_e32 v[116:117], s[42:43], v[114:115]
	s_clause 0x1
	scratch_store_b64 off, v[118:119], off offset:312
	scratch_store_b64 off, v[116:117], off offset:304
	v_fma_f64 v[116:117], v[104:105], s[10:11], v[116:117]
	s_delay_alu instid0(VALU_DEP_1) | instskip(SKIP_2) | instid1(VALU_DEP_2)
	v_add_f64_e32 v[8:9], v[116:117], v[8:9]
	v_fma_f64 v[116:117], v[106:107], s[10:11], -v[118:119]
	v_mul_f64_e32 v[118:119], s[26:27], v[112:113]
	v_add_f64_e32 v[10:11], v[116:117], v[10:11]
	v_mul_f64_e32 v[116:117], s[26:27], v[114:115]
	s_clause 0x1
	scratch_store_b64 off, v[118:119], off offset:296
	scratch_store_b64 off, v[116:117], off offset:288
	v_fma_f64 v[116:117], v[104:105], s[18:19], v[116:117]
	s_delay_alu instid0(VALU_DEP_1) | instskip(SKIP_2) | instid1(VALU_DEP_2)
	v_add_f64_e32 v[12:13], v[116:117], v[12:13]
	v_fma_f64 v[116:117], v[106:107], s[18:19], -v[118:119]
	v_mul_f64_e32 v[118:119], s[34:35], v[112:113]
	;; [unrolled: 10-line block ×3, first 2 shown]
	v_add_f64_e32 v[18:19], v[116:117], v[18:19]
	v_mul_f64_e32 v[116:117], s[50:51], v[114:115]
	scratch_store_b64 off, v[116:117], off offset:256 ; 8-byte Folded Spill
	v_fma_f64 v[116:117], v[104:105], s[20:21], v[116:117]
	s_delay_alu instid0(VALU_DEP_1) | instskip(SKIP_1) | instid1(VALU_DEP_1)
	v_add_f64_e32 v[88:89], v[116:117], v[88:89]
	v_fma_f64 v[116:117], v[106:107], s[20:21], -v[118:119]
	v_add_f64_e32 v[90:91], v[116:117], v[90:91]
	v_mul_f64_e32 v[116:117], s[48:49], v[114:115]
	scratch_store_b64 off, v[118:119], off offset:264 ; 8-byte Folded Spill
	v_mul_f64_e32 v[118:119], s[48:49], v[112:113]
	scratch_store_b64 off, v[116:117], off offset:320 ; 8-byte Folded Spill
	v_fma_f64 v[116:117], v[104:105], s[16:17], v[116:117]
	scratch_store_b64 off, v[118:119], off offset:328 ; 8-byte Folded Spill
	v_add_f64_e32 v[92:93], v[116:117], v[92:93]
	v_fma_f64 v[116:117], v[106:107], s[16:17], -v[118:119]
	v_mul_f64_e32 v[118:119], s[28:29], v[112:113]
	v_mul_f64_e32 v[112:113], s[44:45], v[112:113]
	s_delay_alu instid0(VALU_DEP_3)
	v_add_f64_e32 v[94:95], v[116:117], v[94:95]
	v_mul_f64_e32 v[116:117], s[28:29], v[114:115]
	v_mul_f64_e32 v[114:115], s[44:45], v[114:115]
	s_clause 0x1
	scratch_store_b64 off, v[118:119], off offset:360
	scratch_store_b64 off, v[116:117], off offset:352
	v_fma_f64 v[116:117], v[104:105], s[8:9], v[116:117]
	s_delay_alu instid0(VALU_DEP_1) | instskip(SKIP_1) | instid1(VALU_DEP_1)
	v_add_f64_e32 v[96:97], v[116:117], v[96:97]
	v_fma_f64 v[116:117], v[106:107], s[8:9], -v[118:119]
	v_add_f64_e32 v[98:99], v[116:117], v[98:99]
	v_fma_f64 v[116:117], v[104:105], s[4:5], -v[114:115]
	v_fma_f64 v[114:115], v[104:105], s[4:5], v[114:115]
	s_delay_alu instid0(VALU_DEP_2) | instskip(SKIP_1) | instid1(VALU_DEP_3)
	v_add_f64_e32 v[100:101], v[116:117], v[100:101]
	v_fma_f64 v[116:117], v[106:107], s[4:5], v[112:113]
	v_add_f64_e32 v[2:3], v[114:115], v[2:3]
	v_fma_f64 v[112:113], v[106:107], s[4:5], -v[112:113]
	v_add_f64_e64 v[114:115], v[42:43], -v[34:35]
	s_delay_alu instid0(VALU_DEP_4) | instskip(NEXT) | instid1(VALU_DEP_3)
	v_add_f64_e32 v[102:103], v[116:117], v[102:103]
	v_add_f64_e32 v[0:1], v[112:113], v[0:1]
	v_add_f64_e64 v[112:113], v[40:41], -v[32:33]
	s_delay_alu instid0(VALU_DEP_4) | instskip(NEXT) | instid1(VALU_DEP_2)
	v_mul_f64_e32 v[116:117], s[36:37], v[114:115]
	v_mul_f64_e32 v[118:119], s[36:37], v[112:113]
	scratch_store_b64 off, v[116:117], off offset:336 ; 8-byte Folded Spill
	v_fma_f64 v[116:117], v[144:145], s[8:9], v[116:117]
	s_delay_alu instid0(VALU_DEP_1) | instskip(SKIP_1) | instid1(VALU_DEP_1)
	v_add_f64_e32 v[4:5], v[116:117], v[4:5]
	v_fma_f64 v[116:117], v[148:149], s[8:9], -v[118:119]
	v_add_f64_e32 v[6:7], v[116:117], v[6:7]
	v_mul_f64_e32 v[116:117], s[26:27], v[114:115]
	scratch_store_b64 off, v[118:119], off offset:344 ; 8-byte Folded Spill
	v_mul_f64_e32 v[118:119], s[26:27], v[112:113]
	scratch_store_b64 off, v[116:117], off offset:416 ; 8-byte Folded Spill
	v_fma_f64 v[116:117], v[144:145], s[18:19], v[116:117]
	scratch_store_b64 off, v[118:119], off offset:424 ; 8-byte Folded Spill
	v_add_f64_e32 v[8:9], v[116:117], v[8:9]
	v_fma_f64 v[116:117], v[148:149], s[18:19], -v[118:119]
	v_mul_f64_e32 v[118:119], s[38:39], v[112:113]
	s_delay_alu instid0(VALU_DEP_2)
	v_add_f64_e32 v[10:11], v[116:117], v[10:11]
	v_mul_f64_e32 v[116:117], s[38:39], v[114:115]
	s_mov_b32 s39, 0x3fe58eea
	s_mov_b32 s38, s46
	scratch_store_b64 off, v[118:119], off offset:408 ; 8-byte Folded Spill
	s_wait_alu 0xfffe
	v_mul_f64_e32 v[253:254], s[38:39], v[120:121]
	v_mul_f64_e32 v[199:200], s[38:39], v[165:166]
	;; [unrolled: 1-line block ×5, first 2 shown]
	scratch_store_b64 off, v[116:117], off offset:400 ; 8-byte Folded Spill
	v_fma_f64 v[116:117], v[144:145], s[22:23], v[116:117]
	v_fma_f64 v[122:123], v[209:210], s[6:7], v[253:254]
	s_delay_alu instid0(VALU_DEP_2) | instskip(SKIP_2) | instid1(VALU_DEP_2)
	v_add_f64_e32 v[12:13], v[116:117], v[12:13]
	v_fma_f64 v[116:117], v[148:149], s[22:23], -v[118:119]
	v_mul_f64_e32 v[118:119], s[48:49], v[112:113]
	v_add_f64_e32 v[14:15], v[116:117], v[14:15]
	v_mul_f64_e32 v[116:117], s[48:49], v[114:115]
	s_clause 0x1
	scratch_store_b64 off, v[118:119], off offset:392
	scratch_store_b64 off, v[116:117], off offset:384
	v_fma_f64 v[116:117], v[144:145], s[16:17], v[116:117]
	s_delay_alu instid0(VALU_DEP_1) | instskip(SKIP_2) | instid1(VALU_DEP_2)
	v_add_f64_e32 v[16:17], v[116:117], v[16:17]
	v_fma_f64 v[116:117], v[148:149], s[16:17], -v[118:119]
	v_mul_f64_e32 v[118:119], s[38:39], v[112:113]
	v_add_f64_e32 v[18:19], v[116:117], v[18:19]
	v_mul_f64_e32 v[116:117], s[38:39], v[114:115]
	scratch_store_b64 off, v[116:117], off offset:368 ; 8-byte Folded Spill
	v_fma_f64 v[116:117], v[144:145], s[6:7], v[116:117]
	s_delay_alu instid0(VALU_DEP_1) | instskip(SKIP_1) | instid1(VALU_DEP_1)
	v_add_f64_e32 v[88:89], v[116:117], v[88:89]
	v_fma_f64 v[116:117], v[148:149], s[6:7], -v[118:119]
	v_add_f64_e32 v[90:91], v[116:117], v[90:91]
	v_mul_f64_e32 v[116:117], s[40:41], v[114:115]
	scratch_store_b64 off, v[118:119], off offset:376 ; 8-byte Folded Spill
	v_mul_f64_e32 v[118:119], s[40:41], v[112:113]
	scratch_store_b64 off, v[116:117], off offset:432 ; 8-byte Folded Spill
	v_fma_f64 v[116:117], v[144:145], s[4:5], v[116:117]
	scratch_store_b64 off, v[118:119], off offset:448 ; 8-byte Folded Spill
	v_add_f64_e32 v[92:93], v[116:117], v[92:93]
	v_fma_f64 v[116:117], v[148:149], s[4:5], -v[118:119]
	v_mul_f64_e32 v[118:119], s[42:43], v[112:113]
	v_mul_f64_e32 v[112:113], s[30:31], v[112:113]
	s_delay_alu instid0(VALU_DEP_3)
	v_add_f64_e32 v[94:95], v[116:117], v[94:95]
	v_mul_f64_e32 v[116:117], s[42:43], v[114:115]
	v_mul_f64_e32 v[114:115], s[30:31], v[114:115]
	s_clause 0x1
	scratch_store_b64 off, v[118:119], off offset:472
	scratch_store_b64 off, v[116:117], off offset:464
	v_fma_f64 v[116:117], v[144:145], s[10:11], v[116:117]
	s_delay_alu instid0(VALU_DEP_1) | instskip(SKIP_1) | instid1(VALU_DEP_1)
	v_add_f64_e32 v[96:97], v[116:117], v[96:97]
	v_fma_f64 v[116:117], v[148:149], s[10:11], -v[118:119]
	v_add_f64_e32 v[98:99], v[116:117], v[98:99]
	v_fma_f64 v[116:117], v[144:145], s[20:21], -v[114:115]
	v_fma_f64 v[114:115], v[144:145], s[20:21], v[114:115]
	s_delay_alu instid0(VALU_DEP_2) | instskip(SKIP_1) | instid1(VALU_DEP_3)
	v_add_f64_e32 v[100:101], v[116:117], v[100:101]
	v_fma_f64 v[116:117], v[148:149], s[20:21], v[112:113]
	v_add_f64_e32 v[2:3], v[114:115], v[2:3]
	v_fma_f64 v[112:113], v[148:149], s[20:21], -v[112:113]
	v_add_f64_e64 v[114:115], v[46:47], -v[38:39]
	s_delay_alu instid0(VALU_DEP_4) | instskip(NEXT) | instid1(VALU_DEP_3)
	v_add_f64_e32 v[102:103], v[116:117], v[102:103]
	v_add_f64_e32 v[0:1], v[112:113], v[0:1]
	v_add_f64_e64 v[112:113], v[44:45], -v[36:37]
	s_delay_alu instid0(VALU_DEP_4) | instskip(NEXT) | instid1(VALU_DEP_2)
	v_mul_f64_e32 v[116:117], s[42:43], v[114:115]
	v_mul_f64_e32 v[118:119], s[42:43], v[112:113]
	scratch_store_b64 off, v[116:117], off offset:440 ; 8-byte Folded Spill
	v_fma_f64 v[116:117], v[177:178], s[10:11], v[116:117]
	v_mul_f64_e32 v[243:244], s[52:53], v[112:113]
	s_delay_alu instid0(VALU_DEP_2) | instskip(SKIP_1) | instid1(VALU_DEP_1)
	v_add_f64_e32 v[4:5], v[116:117], v[4:5]
	v_fma_f64 v[116:117], v[181:182], s[10:11], -v[118:119]
	v_add_f64_e32 v[6:7], v[116:117], v[6:7]
	v_mul_f64_e32 v[116:117], s[34:35], v[114:115]
	scratch_store_b64 off, v[118:119], off offset:456 ; 8-byte Folded Spill
	v_mul_f64_e32 v[118:119], s[34:35], v[112:113]
	scratch_store_b64 off, v[116:117], off offset:528 ; 8-byte Folded Spill
	v_fma_f64 v[116:117], v[177:178], s[22:23], v[116:117]
	scratch_store_b64 off, v[118:119], off offset:536 ; 8-byte Folded Spill
	v_add_f64_e32 v[8:9], v[116:117], v[8:9]
	v_fma_f64 v[116:117], v[181:182], s[22:23], -v[118:119]
	v_mul_f64_e32 v[118:119], s[48:49], v[112:113]
	s_delay_alu instid0(VALU_DEP_2)
	v_add_f64_e32 v[10:11], v[116:117], v[10:11]
	v_mul_f64_e32 v[116:117], s[48:49], v[114:115]
	s_clause 0x1
	scratch_store_b64 off, v[118:119], off offset:520
	scratch_store_b64 off, v[116:117], off offset:512
	v_fma_f64 v[116:117], v[177:178], s[16:17], v[116:117]
	s_delay_alu instid0(VALU_DEP_1) | instskip(SKIP_2) | instid1(VALU_DEP_3)
	v_add_f64_e32 v[12:13], v[116:117], v[12:13]
	v_fma_f64 v[116:117], v[181:182], s[16:17], -v[118:119]
	v_mul_f64_e32 v[118:119], s[44:45], v[112:113]
	v_add_f64_e32 v[12:13], v[122:123], v[12:13]
	s_delay_alu instid0(VALU_DEP_3)
	v_add_f64_e32 v[14:15], v[116:117], v[14:15]
	v_mul_f64_e32 v[116:117], s[44:45], v[114:115]
	s_clause 0x1
	scratch_store_b64 off, v[118:119], off offset:504
	scratch_store_b64 off, v[116:117], off offset:496
	v_fma_f64 v[116:117], v[177:178], s[4:5], v[116:117]
	s_delay_alu instid0(VALU_DEP_1) | instskip(SKIP_2) | instid1(VALU_DEP_2)
	v_add_f64_e32 v[16:17], v[116:117], v[16:17]
	v_fma_f64 v[116:117], v[181:182], s[4:5], -v[118:119]
	v_mul_f64_e32 v[118:119], s[36:37], v[112:113]
	v_add_f64_e32 v[18:19], v[116:117], v[18:19]
	v_mul_f64_e32 v[116:117], s[36:37], v[114:115]
	scratch_store_b64 off, v[116:117], off offset:480 ; 8-byte Folded Spill
	v_fma_f64 v[116:117], v[177:178], s[8:9], v[116:117]
	s_delay_alu instid0(VALU_DEP_1) | instskip(SKIP_1) | instid1(VALU_DEP_1)
	v_add_f64_e32 v[88:89], v[116:117], v[88:89]
	v_fma_f64 v[116:117], v[181:182], s[8:9], -v[118:119]
	v_add_f64_e32 v[90:91], v[116:117], v[90:91]
	v_mul_f64_e32 v[116:117], s[30:31], v[114:115]
	scratch_store_b64 off, v[118:119], off offset:488 ; 8-byte Folded Spill
	v_mul_f64_e32 v[118:119], s[30:31], v[112:113]
	v_mul_f64_e32 v[112:113], s[38:39], v[112:113]
	scratch_store_b64 off, v[116:117], off offset:560 ; 8-byte Folded Spill
	v_fma_f64 v[116:117], v[177:178], s[20:21], v[116:117]
	scratch_store_b64 off, v[118:119], off offset:568 ; 8-byte Folded Spill
	v_add_f64_e32 v[92:93], v[116:117], v[92:93]
	v_fma_f64 v[116:117], v[181:182], s[20:21], -v[118:119]
	v_add_f64_e64 v[118:119], v[60:61], -v[64:65]
	s_delay_alu instid0(VALU_DEP_2) | instskip(SKIP_2) | instid1(VALU_DEP_4)
	v_add_f64_e32 v[94:95], v[116:117], v[94:95]
	v_mul_f64_e32 v[116:117], s[52:53], v[114:115]
	v_mul_f64_e32 v[114:115], s[38:39], v[114:115]
	;; [unrolled: 1-line block ×4, first 2 shown]
	s_mov_b32 s37, 0x3fefdd0d
	s_mov_b32 s36, s42
	v_mul_f64_e32 v[132:133], s[40:41], v[118:119]
	s_wait_alu 0xfffe
	v_mul_f64_e32 v[124:125], s[36:37], v[118:119]
	scratch_store_b64 off, v[116:117], off offset:576 ; 8-byte Folded Spill
	v_fma_f64 v[116:117], v[177:178], s[18:19], v[116:117]
	s_delay_alu instid0(VALU_DEP_1) | instskip(SKIP_1) | instid1(VALU_DEP_1)
	v_add_f64_e32 v[96:97], v[116:117], v[96:97]
	v_fma_f64 v[116:117], v[181:182], s[18:19], -v[243:244]
	v_add_f64_e32 v[98:99], v[116:117], v[98:99]
	v_fma_f64 v[116:117], v[177:178], s[6:7], -v[114:115]
	v_fma_f64 v[114:115], v[177:178], s[6:7], v[114:115]
	s_delay_alu instid0(VALU_DEP_2) | instskip(SKIP_2) | instid1(VALU_DEP_4)
	v_add_f64_e32 v[100:101], v[116:117], v[100:101]
	v_fma_f64 v[116:117], v[181:182], s[6:7], v[112:113]
	v_fma_f64 v[112:113], v[181:182], s[6:7], -v[112:113]
	v_add_f64_e32 v[2:3], v[114:115], v[2:3]
	v_mul_f64_e32 v[114:115], s[24:25], v[118:119]
	s_delay_alu instid0(VALU_DEP_4) | instskip(NEXT) | instid1(VALU_DEP_4)
	v_add_f64_e32 v[102:103], v[116:117], v[102:103]
	v_add_f64_e32 v[0:1], v[112:113], v[0:1]
	v_mul_f64_e32 v[112:113], s[24:25], v[120:121]
	scratch_store_b64 off, v[114:115], off offset:552 ; 8-byte Folded Spill
	v_mul_f64_e32 v[116:117], s[50:51], v[118:119]
	scratch_store_b64 off, v[112:113], off offset:544 ; 8-byte Folded Spill
	v_fma_f64 v[112:113], v[209:210], s[16:17], v[112:113]
	s_delay_alu instid0(VALU_DEP_1) | instskip(SKIP_2) | instid1(VALU_DEP_2)
	v_add_f64_e32 v[4:5], v[112:113], v[4:5]
	v_fma_f64 v[112:113], v[211:212], s[16:17], -v[114:115]
	v_mul_f64_e32 v[114:115], s[50:51], v[120:121]
	v_add_f64_e32 v[6:7], v[112:113], v[6:7]
	s_delay_alu instid0(VALU_DEP_2) | instskip(NEXT) | instid1(VALU_DEP_1)
	v_fma_f64 v[112:113], v[209:210], s[20:21], v[114:115]
	v_add_f64_e32 v[8:9], v[112:113], v[8:9]
	v_fma_f64 v[112:113], v[211:212], s[20:21], -v[116:117]
	s_delay_alu instid0(VALU_DEP_1) | instskip(SKIP_2) | instid1(VALU_DEP_2)
	v_add_f64_e32 v[10:11], v[112:113], v[10:11]
	v_mul_f64_e32 v[112:113], s[38:39], v[118:119]
	v_mul_f64_e32 v[118:119], s[26:27], v[118:119]
	v_fma_f64 v[122:123], v[211:212], s[6:7], -v[112:113]
	s_delay_alu instid0(VALU_DEP_1) | instskip(SKIP_1) | instid1(VALU_DEP_1)
	v_add_f64_e32 v[14:15], v[122:123], v[14:15]
	v_fma_f64 v[122:123], v[209:210], s[8:9], v[249:250]
	v_add_f64_e32 v[16:17], v[122:123], v[16:17]
	v_fma_f64 v[122:123], v[211:212], s[8:9], -v[251:252]
	s_delay_alu instid0(VALU_DEP_1) | instskip(SKIP_1) | instid1(VALU_DEP_1)
	v_add_f64_e32 v[18:19], v[122:123], v[18:19]
	v_fma_f64 v[122:123], v[209:210], s[22:23], v[245:246]
	v_add_f64_e32 v[88:89], v[122:123], v[88:89]
	v_fma_f64 v[122:123], v[211:212], s[22:23], -v[247:248]
	s_delay_alu instid0(VALU_DEP_1) | instskip(SKIP_2) | instid1(VALU_DEP_2)
	v_add_f64_e32 v[90:91], v[122:123], v[90:91]
	v_mul_f64_e32 v[122:123], s[36:37], v[120:121]
	v_mul_f64_e32 v[120:121], s[26:27], v[120:121]
	v_fma_f64 v[126:127], v[209:210], s[10:11], v[122:123]
	s_delay_alu instid0(VALU_DEP_1) | instskip(SKIP_1) | instid1(VALU_DEP_1)
	v_add_f64_e32 v[92:93], v[126:127], v[92:93]
	v_fma_f64 v[126:127], v[211:212], s[10:11], -v[124:125]
	v_add_f64_e32 v[94:95], v[126:127], v[94:95]
	v_fma_f64 v[126:127], v[209:210], s[4:5], v[128:129]
	s_delay_alu instid0(VALU_DEP_1) | instskip(SKIP_1) | instid1(VALU_DEP_1)
	v_add_f64_e32 v[96:97], v[126:127], v[96:97]
	v_fma_f64 v[126:127], v[211:212], s[4:5], -v[132:133]
	v_add_f64_e32 v[98:99], v[126:127], v[98:99]
	v_fma_f64 v[126:127], v[209:210], s[18:19], -v[120:121]
	v_fma_f64 v[120:121], v[209:210], s[18:19], v[120:121]
	s_delay_alu instid0(VALU_DEP_2) | instskip(SKIP_2) | instid1(VALU_DEP_4)
	v_add_f64_e32 v[100:101], v[126:127], v[100:101]
	v_fma_f64 v[126:127], v[211:212], s[18:19], v[118:119]
	v_fma_f64 v[118:119], v[211:212], s[18:19], -v[118:119]
	v_add_f64_e32 v[2:3], v[120:121], v[2:3]
	s_delay_alu instid0(VALU_DEP_3) | instskip(NEXT) | instid1(VALU_DEP_3)
	v_add_f64_e32 v[102:103], v[126:127], v[102:103]
	v_add_f64_e32 v[0:1], v[118:119], v[0:1]
	v_add_f64_e64 v[126:127], v[68:69], -v[80:81]
	v_mul_f64_e32 v[118:119], s[26:27], v[130:131]
	s_delay_alu instid0(VALU_DEP_2) | instskip(NEXT) | instid1(VALU_DEP_2)
	v_mul_f64_e32 v[120:121], s[26:27], v[126:127]
	v_fma_f64 v[134:135], v[239:240], s[18:19], v[118:119]
	v_mul_f64_e32 v[152:153], s[48:49], v[126:127]
	v_mul_f64_e32 v[146:147], s[40:41], v[126:127]
	;; [unrolled: 1-line block ×7, first 2 shown]
	v_add_f64_e32 v[4:5], v[134:135], v[4:5]
	v_fma_f64 v[134:135], v[241:242], s[18:19], -v[120:121]
	s_delay_alu instid0(VALU_DEP_1) | instskip(SKIP_1) | instid1(VALU_DEP_1)
	v_add_f64_e32 v[6:7], v[134:135], v[6:7]
	v_fma_f64 v[134:135], v[239:240], s[16:17], v[150:151]
	v_add_f64_e32 v[8:9], v[134:135], v[8:9]
	v_fma_f64 v[134:135], v[241:242], s[16:17], -v[152:153]
	s_delay_alu instid0(VALU_DEP_1) | instskip(SKIP_1) | instid1(VALU_DEP_1)
	v_add_f64_e32 v[10:11], v[134:135], v[10:11]
	v_fma_f64 v[134:135], v[239:240], s[4:5], v[142:143]
	;; [unrolled: 5-line block ×3, first 2 shown]
	v_add_f64_e32 v[16:17], v[134:135], v[16:17]
	v_fma_f64 v[134:135], v[241:242], s[20:21], -v[140:141]
	s_delay_alu instid0(VALU_DEP_1) | instskip(SKIP_2) | instid1(VALU_DEP_2)
	v_add_f64_e32 v[18:19], v[134:135], v[18:19]
	v_mul_f64_e32 v[134:135], s[36:37], v[130:131]
	v_mul_f64_e32 v[130:131], s[28:29], v[130:131]
	v_fma_f64 v[154:155], v[239:240], s[10:11], v[134:135]
	s_delay_alu instid0(VALU_DEP_1) | instskip(SKIP_1) | instid1(VALU_DEP_1)
	v_add_f64_e32 v[88:89], v[154:155], v[88:89]
	v_fma_f64 v[154:155], v[241:242], s[10:11], -v[136:137]
	v_add_f64_e32 v[90:91], v[154:155], v[90:91]
	v_fma_f64 v[154:155], v[239:240], s[6:7], v[158:159]
	s_delay_alu instid0(VALU_DEP_1) | instskip(SKIP_1) | instid1(VALU_DEP_1)
	v_add_f64_e32 v[92:93], v[154:155], v[92:93]
	v_fma_f64 v[154:155], v[241:242], s[6:7], -v[161:162]
	v_add_f64_e32 v[94:95], v[154:155], v[94:95]
	;; [unrolled: 5-line block ×3, first 2 shown]
	v_fma_f64 v[154:155], v[239:240], s[8:9], -v[130:131]
	v_fma_f64 v[130:131], v[239:240], s[8:9], v[130:131]
	s_delay_alu instid0(VALU_DEP_2) | instskip(SKIP_2) | instid1(VALU_DEP_4)
	v_add_f64_e32 v[100:101], v[154:155], v[100:101]
	v_fma_f64 v[154:155], v[241:242], s[8:9], v[126:127]
	v_fma_f64 v[126:127], v[241:242], s[8:9], -v[126:127]
	v_add_f64_e32 v[2:3], v[130:131], v[2:3]
	v_add_f64_e32 v[130:131], v[58:59], v[86:87]
	s_delay_alu instid0(VALU_DEP_4) | instskip(NEXT) | instid1(VALU_DEP_4)
	v_add_f64_e32 v[102:103], v[154:155], v[102:103]
	v_add_f64_e32 v[0:1], v[126:127], v[0:1]
	;; [unrolled: 1-line block ×3, first 2 shown]
	v_mul_f64_e32 v[154:155], s[30:31], v[165:166]
	s_delay_alu instid0(VALU_DEP_1) | instskip(NEXT) | instid1(VALU_DEP_1)
	v_fma_f64 v[169:170], v[126:127], s[20:21], v[154:155]
	v_add_f64_e32 v[4:5], v[169:170], v[4:5]
	v_fma_f64 v[169:170], v[130:131], s[20:21], -v[156:157]
	s_delay_alu instid0(VALU_DEP_1) | instskip(SKIP_1) | instid1(VALU_DEP_1)
	v_add_f64_e32 v[6:7], v[169:170], v[6:7]
	v_fma_f64 v[169:170], v[126:127], s[8:9], v[187:188]
	v_add_f64_e32 v[207:208], v[169:170], v[8:9]
	v_fma_f64 v[8:9], v[130:131], s[8:9], -v[189:190]
	v_mul_f64_e32 v[169:170], s[40:41], v[165:166]
	v_mul_f64_e32 v[165:166], s[24:25], v[165:166]
	s_delay_alu instid0(VALU_DEP_3) | instskip(SKIP_2) | instid1(VALU_DEP_2)
	v_add_f64_e32 v[213:214], v[8:9], v[10:11]
	v_fma_f64 v[8:9], v[126:127], s[10:11], v[183:184]
	v_fma_f64 v[10:11], v[130:131], s[10:11], -v[185:186]
	v_add_f64_e32 v[8:9], v[8:9], v[12:13]
	v_fma_f64 v[12:13], v[126:127], s[18:19], v[175:176]
	s_delay_alu instid0(VALU_DEP_3) | instskip(SKIP_1) | instid1(VALU_DEP_3)
	v_add_f64_e32 v[10:11], v[10:11], v[14:15]
	v_fma_f64 v[14:15], v[130:131], s[18:19], -v[179:180]
	v_add_f64_e32 v[12:13], v[12:13], v[16:17]
	v_fma_f64 v[16:17], v[126:127], s[4:5], v[169:170]
	s_delay_alu instid0(VALU_DEP_3) | instskip(SKIP_1) | instid1(VALU_DEP_3)
	v_add_f64_e32 v[14:15], v[14:15], v[18:19]
	;; [unrolled: 5-line block ×4, first 2 shown]
	v_fma_f64 v[94:95], v[130:131], s[16:17], v[163:164]
	v_add_f64_e32 v[96:97], v[92:93], v[96:97]
	v_fma_f64 v[92:93], v[130:131], s[6:7], -v[201:202]
	s_delay_alu instid0(VALU_DEP_3) | instskip(NEXT) | instid1(VALU_DEP_2)
	v_add_f64_e32 v[94:95], v[94:95], v[102:103]
	v_add_f64_e32 v[98:99], v[92:93], v[98:99]
	v_fma_f64 v[92:93], v[126:127], s[16:17], -v[165:166]
	s_delay_alu instid0(VALU_DEP_1) | instskip(SKIP_2) | instid1(VALU_DEP_2)
	v_add_f64_e32 v[92:93], v[92:93], v[100:101]
	v_fma_f64 v[100:101], v[126:127], s[16:17], v[165:166]
	v_add_f64_e32 v[165:166], v[74:75], v[78:79]
	v_add_f64_e32 v[100:101], v[100:101], v[2:3]
	v_fma_f64 v[2:3], v[130:131], s[16:17], -v[163:164]
	v_add_f64_e32 v[163:164], v[72:73], v[76:77]
	s_delay_alu instid0(VALU_DEP_2) | instskip(NEXT) | instid1(VALU_DEP_2)
	v_add_f64_e32 v[102:103], v[2:3], v[0:1]
	v_fma_f64 v[0:1], v[163:164], s[22:23], v[193:194]
	v_fma_f64 v[2:3], v[165:166], s[22:23], -v[197:198]
	s_delay_alu instid0(VALU_DEP_2) | instskip(NEXT) | instid1(VALU_DEP_2)
	v_add_f64_e32 v[0:1], v[0:1], v[4:5]
	v_add_f64_e32 v[2:3], v[2:3], v[6:7]
	v_fma_f64 v[4:5], v[163:164], s[4:5], v[203:204]
	v_fma_f64 v[6:7], v[165:166], s[4:5], -v[205:206]
	scratch_store_b128 off, v[0:3], off offset:8 ; 16-byte Folded Spill
	v_add_f64_e32 v[0:1], v[4:5], v[207:208]
	v_mul_f64_e32 v[207:208], s[30:31], v[233:234]
	v_add_f64_e32 v[2:3], v[6:7], v[213:214]
	v_mul_f64_e32 v[213:214], s[30:31], v[227:228]
	v_mul_f64_e32 v[227:228], s[36:37], v[227:228]
	s_delay_alu instid0(VALU_DEP_4) | instskip(SKIP_3) | instid1(VALU_DEP_1)
	v_fma_f64 v[215:216], v[163:164], s[20:21], v[207:208]
	scratch_store_b128 off, v[0:3], off offset:24 ; 16-byte Folded Spill
	v_add_f64_e32 v[0:1], v[215:216], v[8:9]
	v_fma_f64 v[215:216], v[165:166], s[20:21], -v[213:214]
	v_add_f64_e32 v[2:3], v[215:216], v[10:11]
	v_mul_f64_e32 v[215:216], s[38:39], v[233:234]
	scratch_store_b128 off, v[0:3], off offset:40 ; 16-byte Folded Spill
	v_fma_f64 v[219:220], v[163:164], s[6:7], v[215:216]
	s_delay_alu instid0(VALU_DEP_1) | instskip(SKIP_1) | instid1(VALU_DEP_1)
	v_add_f64_e32 v[0:1], v[219:220], v[12:13]
	v_fma_f64 v[219:220], v[165:166], s[6:7], -v[217:218]
	v_add_f64_e32 v[2:3], v[219:220], v[14:15]
	v_mul_f64_e32 v[219:220], s[26:27], v[233:234]
	scratch_store_b128 off, v[0:3], off offset:56 ; 16-byte Folded Spill
	v_fma_f64 v[223:224], v[163:164], s[18:19], v[219:220]
	s_delay_alu instid0(VALU_DEP_1) | instskip(SKIP_1) | instid1(VALU_DEP_1)
	v_add_f64_e32 v[0:1], v[223:224], v[16:17]
	v_fma_f64 v[223:224], v[165:166], s[18:19], -v[221:222]
	v_add_f64_e32 v[2:3], v[223:224], v[18:19]
	v_mul_f64_e32 v[223:224], s[28:29], v[233:234]
	scratch_store_b128 off, v[0:3], off offset:72 ; 16-byte Folded Spill
	global_wb scope:SCOPE_SE
	s_wait_storecnt 0x0
	s_wait_kmcnt 0x0
	s_barrier_signal -1
	s_barrier_wait -1
	global_inv scope:SCOPE_SE
	scratch_load_b32 v7, off, off           ; 4-byte Folded Reload
	v_fma_f64 v[229:230], v[163:164], s[8:9], v[223:224]
	s_delay_alu instid0(VALU_DEP_1) | instskip(SKIP_1) | instid1(VALU_DEP_1)
	v_add_f64_e32 v[88:89], v[229:230], v[88:89]
	v_fma_f64 v[229:230], v[165:166], s[8:9], -v[225:226]
	v_add_f64_e32 v[90:91], v[229:230], v[90:91]
	v_mul_f64_e32 v[229:230], s[24:25], v[233:234]
	v_mul_f64_e32 v[233:234], s[36:37], v[233:234]
	s_delay_alu instid0(VALU_DEP_2) | instskip(NEXT) | instid1(VALU_DEP_1)
	v_fma_f64 v[236:237], v[163:164], s[16:17], v[229:230]
	v_add_f64_e32 v[96:97], v[236:237], v[96:97]
	v_fma_f64 v[236:237], v[165:166], s[16:17], -v[231:232]
	s_delay_alu instid0(VALU_DEP_1) | instskip(SKIP_2) | instid1(VALU_DEP_2)
	v_add_f64_e32 v[98:99], v[236:237], v[98:99]
	v_fma_f64 v[236:237], v[163:164], s[10:11], -v[233:234]
	v_fma_f64 v[233:234], v[163:164], s[10:11], v[233:234]
	v_add_f64_e32 v[92:93], v[236:237], v[92:93]
	v_fma_f64 v[236:237], v[165:166], s[10:11], v[227:228]
	v_fma_f64 v[227:228], v[165:166], s[10:11], -v[227:228]
	s_delay_alu instid0(VALU_DEP_4) | instskip(NEXT) | instid1(VALU_DEP_3)
	v_add_f64_e32 v[100:101], v[233:234], v[100:101]
	v_add_f64_e32 v[94:95], v[236:237], v[94:95]
	s_delay_alu instid0(VALU_DEP_3)
	v_add_f64_e32 v[102:103], v[227:228], v[102:103]
	s_wait_loadcnt 0x0
	v_mul_lo_u16 v0, v7, 17
	scratch_store_b32 off, v0, off offset:132 ; 4-byte Folded Spill
	s_and_saveexec_b32 s24, vcc_lo
	s_cbranch_execz .LBB0_7
; %bb.6:
	v_add_f64_e32 v[48:49], v[20:21], v[48:49]
	scratch_load_b64 v[0:1], off, off offset:248 th:TH_LOAD_LU ; 8-byte Folded Reload
	v_add_f64_e32 v[50:51], v[22:23], v[50:51]
	v_add_f64_e32 v[48:49], v[52:53], v[48:49]
	v_mul_f64_e32 v[52:53], s[4:5], v[110:111]
	s_delay_alu instid0(VALU_DEP_3) | instskip(SKIP_1) | instid1(VALU_DEP_4)
	v_add_f64_e32 v[50:51], v[54:55], v[50:51]
	v_mul_f64_e32 v[54:55], s[4:5], v[108:109]
	v_add_f64_e32 v[40:41], v[40:41], v[48:49]
	v_mul_f64_e32 v[48:49], s[6:7], v[110:111]
	s_delay_alu instid0(VALU_DEP_4) | instskip(SKIP_1) | instid1(VALU_DEP_4)
	v_add_f64_e32 v[42:43], v[42:43], v[50:51]
	v_mul_f64_e32 v[50:51], s[6:7], v[108:109]
	v_add_f64_e32 v[40:41], v[44:45], v[40:41]
	v_mul_f64_e32 v[44:45], s[8:9], v[110:111]
	s_delay_alu instid0(VALU_DEP_4) | instskip(SKIP_1) | instid1(VALU_DEP_4)
	v_add_f64_e32 v[42:43], v[46:47], v[42:43]
	v_mul_f64_e32 v[46:47], s[8:9], v[108:109]
	v_add_f64_e32 v[40:41], v[60:61], v[40:41]
	v_mul_f64_e32 v[60:61], s[8:9], v[106:107]
	s_delay_alu instid0(VALU_DEP_4) | instskip(SKIP_1) | instid1(VALU_DEP_4)
	v_add_f64_e32 v[42:43], v[62:63], v[42:43]
	v_mul_f64_e32 v[62:63], s[22:23], v[239:240]
	v_add_f64_e32 v[40:41], v[68:69], v[40:41]
	v_mul_f64_e32 v[68:69], s[10:11], v[144:145]
	s_delay_alu instid0(VALU_DEP_4) | instskip(NEXT) | instid1(VALU_DEP_4)
	v_add_f64_e32 v[42:43], v[70:71], v[42:43]
	v_add_f64_e64 v[62:63], v[62:63], -v[167:168]
	s_delay_alu instid0(VALU_DEP_4) | instskip(NEXT) | instid1(VALU_DEP_3)
	v_add_f64_e32 v[40:41], v[56:57], v[40:41]
	v_add_f64_e32 v[42:43], v[58:59], v[42:43]
	s_delay_alu instid0(VALU_DEP_2) | instskip(NEXT) | instid1(VALU_DEP_2)
	v_add_f64_e32 v[40:41], v[72:73], v[40:41]
	v_add_f64_e32 v[42:43], v[74:75], v[42:43]
	s_delay_alu instid0(VALU_DEP_2) | instskip(NEXT) | instid1(VALU_DEP_2)
	;; [unrolled: 3-line block ×4, first 2 shown]
	v_add_f64_e32 v[40:41], v[80:81], v[40:41]
	v_add_f64_e32 v[42:43], v[82:83], v[42:43]
	s_delay_alu instid0(VALU_DEP_2) | instskip(SKIP_1) | instid1(VALU_DEP_3)
	v_add_f64_e32 v[40:41], v[64:65], v[40:41]
	v_mul_f64_e32 v[64:65], s[4:5], v[209:210]
	v_add_f64_e32 v[42:43], v[66:67], v[42:43]
	v_mul_f64_e32 v[66:67], s[8:9], v[104:105]
	s_delay_alu instid0(VALU_DEP_4) | instskip(SKIP_1) | instid1(VALU_DEP_4)
	v_add_f64_e32 v[36:37], v[36:37], v[40:41]
	v_mul_f64_e32 v[40:41], s[10:11], v[110:111]
	v_add_f64_e32 v[38:39], v[38:39], v[42:43]
	v_mul_f64_e32 v[42:43], s[10:11], v[108:109]
	v_add_f64_e64 v[64:65], v[64:65], -v[128:129]
	v_add_f64_e32 v[32:33], v[32:33], v[36:37]
	v_mul_f64_e32 v[36:37], s[16:17], v[110:111]
	v_add_f64_e32 v[34:35], v[34:35], v[38:39]
	v_mul_f64_e32 v[38:39], s[16:17], v[108:109]
	s_delay_alu instid0(VALU_DEP_4) | instskip(SKIP_1) | instid1(VALU_DEP_4)
	v_add_f64_e32 v[28:29], v[28:29], v[32:33]
	v_mul_f64_e32 v[32:33], s[18:19], v[110:111]
	v_add_f64_e32 v[30:31], v[30:31], v[34:35]
	v_mul_f64_e32 v[34:35], s[18:19], v[108:109]
	s_delay_alu instid0(VALU_DEP_4) | instskip(SKIP_1) | instid1(VALU_DEP_4)
	v_add_f64_e32 v[24:25], v[24:25], v[28:29]
	v_mul_f64_e32 v[28:29], s[20:21], v[110:111]
	v_add_f64_e32 v[26:27], v[26:27], v[30:31]
	v_mul_f64_e32 v[30:31], s[20:21], v[108:109]
	s_wait_loadcnt 0x0
	s_delay_alu instid0(VALU_DEP_3)
	v_add_f64_e32 v[28:29], v[0:1], v[28:29]
	scratch_load_b64 v[0:1], off, off offset:240 th:TH_LOAD_LU ; 8-byte Folded Reload
	v_add_f64_e32 v[28:29], v[22:23], v[28:29]
	s_wait_loadcnt 0x0
	v_add_f64_e64 v[30:31], v[30:31], -v[0:1]
	scratch_load_b64 v[0:1], off, off offset:216 th:TH_LOAD_LU ; 8-byte Folded Reload
	v_add_f64_e32 v[30:31], v[20:21], v[30:31]
	s_wait_loadcnt 0x0
	v_add_f64_e32 v[32:33], v[0:1], v[32:33]
	scratch_load_b64 v[0:1], off, off offset:208 th:TH_LOAD_LU ; 8-byte Folded Reload
	v_add_f64_e32 v[32:33], v[22:23], v[32:33]
	s_wait_loadcnt 0x0
	v_add_f64_e64 v[34:35], v[34:35], -v[0:1]
	scratch_load_b64 v[0:1], off, off offset:200 th:TH_LOAD_LU ; 8-byte Folded Reload
	v_add_f64_e32 v[34:35], v[20:21], v[34:35]
	s_wait_loadcnt 0x0
	;; [unrolled: 8-line block ×6, first 2 shown]
	v_add_f64_e32 v[52:53], v[0:1], v[52:53]
	scratch_load_b64 v[0:1], off, off offset:88 th:TH_LOAD_LU ; 8-byte Folded Reload
	v_add_f64_e32 v[48:49], v[22:23], v[52:53]
	v_mul_f64_e32 v[52:53], s[18:19], v[181:182]
	v_mul_f64_e32 v[22:23], s[4:5], v[211:212]
	s_delay_alu instid0(VALU_DEP_2) | instskip(NEXT) | instid1(VALU_DEP_2)
	v_add_f64_e32 v[52:53], v[243:244], v[52:53]
	v_add_f64_e32 v[22:23], v[132:133], v[22:23]
	s_wait_loadcnt 0x0
	v_add_f64_e64 v[54:55], v[54:55], -v[0:1]
	scratch_load_b64 v[0:1], off, off offset:472 th:TH_LOAD_LU ; 8-byte Folded Reload
	v_add_f64_e32 v[50:51], v[20:21], v[54:55]
	v_mul_f64_e32 v[54:55], s[10:11], v[148:149]
	v_mul_f64_e32 v[20:21], s[22:23], v[241:242]
	s_delay_alu instid0(VALU_DEP_1) | instskip(SKIP_1) | instid1(VALU_DEP_3)
	v_add_f64_e32 v[20:21], v[173:174], v[20:21]
	s_wait_loadcnt 0x0
	v_add_f64_e32 v[54:55], v[0:1], v[54:55]
	scratch_load_b64 v[0:1], off, off offset:360 th:TH_LOAD_LU ; 8-byte Folded Reload
	s_wait_loadcnt 0x0
	v_add_f64_e32 v[60:61], v[0:1], v[60:61]
	scratch_load_b64 v[0:1], off, off offset:352 th:TH_LOAD_LU ; 8-byte Folded Reload
	v_add_f64_e32 v[28:29], v[60:61], v[28:29]
	v_mul_f64_e32 v[60:61], s[18:19], v[177:178]
	s_delay_alu instid0(VALU_DEP_2) | instskip(SKIP_1) | instid1(VALU_DEP_2)
	v_add_f64_e32 v[28:29], v[54:55], v[28:29]
	v_mul_f64_e32 v[54:55], s[6:7], v[130:131]
	v_add_f64_e32 v[28:29], v[52:53], v[28:29]
	s_delay_alu instid0(VALU_DEP_2) | instskip(SKIP_1) | instid1(VALU_DEP_3)
	v_add_f64_e32 v[54:55], v[201:202], v[54:55]
	v_mul_f64_e32 v[52:53], s[6:7], v[126:127]
	v_add_f64_e32 v[22:23], v[22:23], v[28:29]
	s_delay_alu instid0(VALU_DEP_2) | instskip(NEXT) | instid1(VALU_DEP_2)
	v_add_f64_e64 v[52:53], v[52:53], -v[199:200]
	v_add_f64_e32 v[20:21], v[20:21], v[22:23]
	s_delay_alu instid0(VALU_DEP_1)
	v_add_f64_e32 v[20:21], v[54:55], v[20:21]
	v_mul_f64_e32 v[54:55], s[16:17], v[106:107]
	s_wait_loadcnt 0x0
	v_add_f64_e64 v[66:67], v[66:67], -v[0:1]
	scratch_load_b64 v[0:1], off, off offset:464 th:TH_LOAD_LU ; 8-byte Folded Reload
	v_add_f64_e32 v[30:31], v[66:67], v[30:31]
	v_mul_f64_e32 v[66:67], s[16:17], v[104:105]
	s_wait_loadcnt 0x0
	v_add_f64_e64 v[68:69], v[68:69], -v[0:1]
	scratch_load_b64 v[0:1], off, off offset:576 th:TH_LOAD_LU ; 8-byte Folded Reload
	v_add_f64_e32 v[30:31], v[68:69], v[30:31]
	v_mul_f64_e32 v[68:69], s[6:7], v[241:242]
	s_delay_alu instid0(VALU_DEP_1)
	v_add_f64_e32 v[68:69], v[161:162], v[68:69]
	s_wait_loadcnt 0x0
	v_add_f64_e64 v[60:61], v[60:61], -v[0:1]
	scratch_load_b64 v[0:1], off, off offset:568 th:TH_LOAD_LU ; 8-byte Folded Reload
	v_add_f64_e32 v[30:31], v[60:61], v[30:31]
	v_mul_f64_e32 v[60:61], s[10:11], v[209:210]
	s_delay_alu instid0(VALU_DEP_2) | instskip(SKIP_2) | instid1(VALU_DEP_4)
	v_add_f64_e32 v[28:29], v[64:65], v[30:31]
	v_mul_f64_e32 v[30:31], s[16:17], v[165:166]
	v_mul_f64_e32 v[64:65], s[4:5], v[144:145]
	v_add_f64_e64 v[60:61], v[60:61], -v[122:123]
	s_delay_alu instid0(VALU_DEP_4) | instskip(NEXT) | instid1(VALU_DEP_4)
	v_add_f64_e32 v[22:23], v[62:63], v[28:29]
	v_add_f64_e32 v[30:31], v[231:232], v[30:31]
	v_mul_f64_e32 v[28:29], s[16:17], v[163:164]
	v_mul_f64_e32 v[62:63], s[20:21], v[177:178]
	s_delay_alu instid0(VALU_DEP_4) | instskip(NEXT) | instid1(VALU_DEP_4)
	v_add_f64_e32 v[52:53], v[52:53], v[22:23]
	v_add_f64_e32 v[22:23], v[30:31], v[20:21]
	v_mul_f64_e32 v[30:31], s[20:21], v[181:182]
	v_add_f64_e64 v[28:29], v[28:29], -v[229:230]
	s_delay_alu instid0(VALU_DEP_1) | instskip(SKIP_2) | instid1(VALU_DEP_1)
	v_add_f64_e32 v[20:21], v[28:29], v[52:53]
	v_mul_f64_e32 v[52:53], s[4:5], v[148:149]
	v_mul_f64_e32 v[28:29], s[10:11], v[211:212]
	v_add_f64_e32 v[28:29], v[124:125], v[28:29]
	s_wait_loadcnt 0x0
	v_add_f64_e32 v[30:31], v[0:1], v[30:31]
	scratch_load_b64 v[0:1], off, off offset:448 th:TH_LOAD_LU ; 8-byte Folded Reload
	s_wait_loadcnt 0x0
	v_add_f64_e32 v[52:53], v[0:1], v[52:53]
	scratch_load_b64 v[0:1], off, off offset:328 th:TH_LOAD_LU ; 8-byte Folded Reload
	s_wait_loadcnt 0x0
	v_add_f64_e32 v[54:55], v[0:1], v[54:55]
	scratch_load_b64 v[0:1], off, off offset:560 th:TH_LOAD_LU ; 8-byte Folded Reload
	v_add_f64_e32 v[32:33], v[54:55], v[32:33]
	v_mul_f64_e32 v[54:55], s[6:7], v[239:240]
	s_delay_alu instid0(VALU_DEP_2) | instskip(SKIP_1) | instid1(VALU_DEP_3)
	v_add_f64_e32 v[32:33], v[52:53], v[32:33]
	v_mul_f64_e32 v[52:53], s[22:23], v[130:131]
	v_add_f64_e64 v[54:55], v[54:55], -v[158:159]
	s_delay_alu instid0(VALU_DEP_3) | instskip(NEXT) | instid1(VALU_DEP_3)
	v_add_f64_e32 v[30:31], v[30:31], v[32:33]
	v_add_f64_e32 v[52:53], v[195:196], v[52:53]
	s_delay_alu instid0(VALU_DEP_2) | instskip(NEXT) | instid1(VALU_DEP_1)
	v_add_f64_e32 v[28:29], v[28:29], v[30:31]
	v_add_f64_e32 v[28:29], v[68:69], v[28:29]
	v_mul_f64_e32 v[68:69], s[16:17], v[241:242]
	s_delay_alu instid0(VALU_DEP_2) | instskip(SKIP_1) | instid1(VALU_DEP_3)
	v_add_f64_e32 v[28:29], v[52:53], v[28:29]
	v_mul_f64_e32 v[52:53], s[10:11], v[106:107]
	v_add_f64_e32 v[68:69], v[152:153], v[68:69]
	s_wait_loadcnt 0x0
	v_add_f64_e64 v[62:63], v[62:63], -v[0:1]
	scratch_load_b64 v[0:1], off, off offset:432 th:TH_LOAD_LU ; 8-byte Folded Reload
	s_wait_loadcnt 0x0
	v_add_f64_e64 v[64:65], v[64:65], -v[0:1]
	scratch_load_b64 v[0:1], off, off offset:320 th:TH_LOAD_LU ; 8-byte Folded Reload
	;; [unrolled: 3-line block ×3, first 2 shown]
	v_add_f64_e32 v[34:35], v[66:67], v[34:35]
	v_mul_f64_e32 v[66:67], s[20:21], v[209:210]
	s_delay_alu instid0(VALU_DEP_2) | instskip(SKIP_1) | instid1(VALU_DEP_3)
	v_add_f64_e32 v[34:35], v[64:65], v[34:35]
	v_mul_f64_e32 v[64:65], s[20:21], v[211:212]
	v_add_f64_e64 v[66:67], v[66:67], -v[114:115]
	s_delay_alu instid0(VALU_DEP_3) | instskip(SKIP_3) | instid1(VALU_DEP_4)
	v_add_f64_e32 v[32:33], v[62:63], v[34:35]
	v_mul_f64_e32 v[34:35], s[22:23], v[126:127]
	v_mul_f64_e32 v[62:63], s[10:11], v[104:105]
	v_add_f64_e32 v[64:65], v[116:117], v[64:65]
	v_add_f64_e32 v[30:31], v[60:61], v[32:33]
	v_mul_f64_e32 v[32:33], s[8:9], v[165:166]
	v_add_f64_e64 v[34:35], v[34:35], -v[191:192]
	v_mul_f64_e32 v[60:61], s[18:19], v[144:145]
	s_delay_alu instid0(VALU_DEP_4) | instskip(NEXT) | instid1(VALU_DEP_4)
	v_add_f64_e32 v[30:31], v[54:55], v[30:31]
	v_add_f64_e32 v[32:33], v[225:226], v[32:33]
	v_mul_f64_e32 v[54:55], s[8:9], v[163:164]
	s_delay_alu instid0(VALU_DEP_3) | instskip(NEXT) | instid1(VALU_DEP_3)
	v_add_f64_e32 v[34:35], v[34:35], v[30:31]
	v_add_f64_e32 v[30:31], v[32:33], v[28:29]
	v_mul_f64_e32 v[32:33], s[22:23], v[181:182]
	s_delay_alu instid0(VALU_DEP_4) | instskip(NEXT) | instid1(VALU_DEP_1)
	v_add_f64_e64 v[54:55], v[54:55], -v[223:224]
	v_add_f64_e32 v[28:29], v[54:55], v[34:35]
	v_mul_f64_e32 v[34:35], s[18:19], v[148:149]
	v_mul_f64_e32 v[54:55], s[22:23], v[177:178]
	s_wait_loadcnt 0x0
	v_add_f64_e32 v[32:33], v[0:1], v[32:33]
	scratch_load_b64 v[0:1], off, off offset:424 th:TH_LOAD_LU ; 8-byte Folded Reload
	s_wait_loadcnt 0x0
	v_add_f64_e32 v[34:35], v[0:1], v[34:35]
	scratch_load_b64 v[0:1], off, off offset:312 th:TH_LOAD_LU ; 8-byte Folded Reload
	;; [unrolled: 3-line block ×3, first 2 shown]
	v_add_f64_e32 v[44:45], v[52:53], v[44:45]
	v_mul_f64_e32 v[52:53], s[16:17], v[239:240]
	s_delay_alu instid0(VALU_DEP_2) | instskip(NEXT) | instid1(VALU_DEP_2)
	v_add_f64_e32 v[34:35], v[34:35], v[44:45]
	v_add_f64_e64 v[52:53], v[52:53], -v[150:151]
	s_delay_alu instid0(VALU_DEP_2) | instskip(NEXT) | instid1(VALU_DEP_1)
	v_add_f64_e32 v[32:33], v[32:33], v[34:35]
	v_add_f64_e32 v[32:33], v[64:65], v[32:33]
	v_mul_f64_e32 v[64:65], s[22:23], v[144:145]
	s_delay_alu instid0(VALU_DEP_2) | instskip(SKIP_1) | instid1(VALU_DEP_1)
	v_add_f64_e32 v[32:33], v[68:69], v[32:33]
	v_mul_f64_e32 v[68:69], s[4:5], v[241:242]
	v_add_f64_e32 v[68:69], v[146:147], v[68:69]
	s_wait_loadcnt 0x0
	v_add_f64_e64 v[54:55], v[54:55], -v[0:1]
	scratch_load_b64 v[0:1], off, off offset:416 th:TH_LOAD_LU ; 8-byte Folded Reload
	s_wait_loadcnt 0x0
	v_add_f64_e64 v[60:61], v[60:61], -v[0:1]
	scratch_load_b64 v[0:1], off, off offset:304 th:TH_LOAD_LU ; 8-byte Folded Reload
	;; [unrolled: 3-line block ×3, first 2 shown]
	v_add_f64_e32 v[46:47], v[62:63], v[46:47]
	v_mul_f64_e32 v[62:63], s[16:17], v[177:178]
	s_delay_alu instid0(VALU_DEP_2) | instskip(SKIP_2) | instid1(VALU_DEP_3)
	v_add_f64_e32 v[44:45], v[60:61], v[46:47]
	v_mul_f64_e32 v[46:47], s[8:9], v[130:131]
	v_mul_f64_e32 v[60:61], s[6:7], v[209:210]
	v_add_f64_e32 v[34:35], v[54:55], v[44:45]
	s_delay_alu instid0(VALU_DEP_3)
	v_add_f64_e32 v[46:47], v[189:190], v[46:47]
	v_mul_f64_e32 v[44:45], s[8:9], v[126:127]
	v_mul_f64_e32 v[54:55], s[4:5], v[165:166]
	v_add_f64_e64 v[60:61], v[60:61], -v[253:254]
	v_add_f64_e32 v[34:35], v[66:67], v[34:35]
	v_add_f64_e32 v[32:33], v[46:47], v[32:33]
	v_mul_f64_e32 v[46:47], s[16:17], v[181:182]
	v_add_f64_e64 v[44:45], v[44:45], -v[187:188]
	v_add_f64_e32 v[54:55], v[205:206], v[54:55]
	v_mul_f64_e32 v[66:67], s[18:19], v[104:105]
	v_add_f64_e32 v[34:35], v[52:53], v[34:35]
	v_mul_f64_e32 v[52:53], s[4:5], v[163:164]
	s_delay_alu instid0(VALU_DEP_2) | instskip(NEXT) | instid1(VALU_DEP_2)
	v_add_f64_e32 v[44:45], v[44:45], v[34:35]
	v_add_f64_e64 v[52:53], v[52:53], -v[203:204]
	v_add_f64_e32 v[34:35], v[54:55], v[32:33]
	v_mul_f64_e32 v[54:55], s[18:19], v[106:107]
	s_delay_alu instid0(VALU_DEP_3) | instskip(SKIP_2) | instid1(VALU_DEP_1)
	v_add_f64_e32 v[32:33], v[52:53], v[44:45]
	v_mul_f64_e32 v[52:53], s[22:23], v[148:149]
	v_mul_f64_e32 v[44:45], s[6:7], v[211:212]
	v_add_f64_e32 v[44:45], v[112:113], v[44:45]
	s_wait_loadcnt 0x0
	v_add_f64_e32 v[46:47], v[0:1], v[46:47]
	scratch_load_b64 v[0:1], off, off offset:408 th:TH_LOAD_LU ; 8-byte Folded Reload
	s_wait_loadcnt 0x0
	v_add_f64_e32 v[52:53], v[0:1], v[52:53]
	scratch_load_b64 v[0:1], off, off offset:296 th:TH_LOAD_LU ; 8-byte Folded Reload
	;; [unrolled: 3-line block ×3, first 2 shown]
	v_add_f64_e32 v[36:37], v[54:55], v[36:37]
	v_mul_f64_e32 v[54:55], s[4:5], v[239:240]
	s_delay_alu instid0(VALU_DEP_2) | instskip(NEXT) | instid1(VALU_DEP_2)
	v_add_f64_e32 v[36:37], v[52:53], v[36:37]
	v_add_f64_e64 v[54:55], v[54:55], -v[142:143]
	v_mul_f64_e32 v[52:53], s[10:11], v[130:131]
	s_delay_alu instid0(VALU_DEP_3) | instskip(SKIP_1) | instid1(VALU_DEP_3)
	v_add_f64_e32 v[36:37], v[46:47], v[36:37]
	v_mul_f64_e32 v[46:47], s[10:11], v[126:127]
	v_add_f64_e32 v[52:53], v[185:186], v[52:53]
	s_delay_alu instid0(VALU_DEP_3) | instskip(NEXT) | instid1(VALU_DEP_3)
	v_add_f64_e32 v[36:37], v[44:45], v[36:37]
	v_add_f64_e64 v[46:47], v[46:47], -v[183:184]
	v_mul_f64_e32 v[44:45], s[20:21], v[165:166]
	s_delay_alu instid0(VALU_DEP_3) | instskip(SKIP_1) | instid1(VALU_DEP_3)
	v_add_f64_e32 v[36:37], v[68:69], v[36:37]
	v_mul_f64_e32 v[68:69], s[20:21], v[241:242]
	v_add_f64_e32 v[44:45], v[213:214], v[44:45]
	s_delay_alu instid0(VALU_DEP_3) | instskip(SKIP_1) | instid1(VALU_DEP_4)
	v_add_f64_e32 v[36:37], v[52:53], v[36:37]
	v_mul_f64_e32 v[52:53], s[16:17], v[148:149]
	v_add_f64_e32 v[68:69], v[140:141], v[68:69]
	s_wait_loadcnt 0x0
	v_add_f64_e64 v[62:63], v[62:63], -v[0:1]
	scratch_load_b64 v[0:1], off, off offset:400 th:TH_LOAD_LU ; 8-byte Folded Reload
	s_wait_loadcnt 0x0
	v_add_f64_e64 v[64:65], v[64:65], -v[0:1]
	scratch_load_b64 v[0:1], off, off offset:288 th:TH_LOAD_LU ; 8-byte Folded Reload
	;; [unrolled: 3-line block ×3, first 2 shown]
	v_add_f64_e32 v[38:39], v[66:67], v[38:39]
	v_mul_f64_e32 v[66:67], s[22:23], v[104:105]
	s_delay_alu instid0(VALU_DEP_2) | instskip(SKIP_1) | instid1(VALU_DEP_2)
	v_add_f64_e32 v[38:39], v[64:65], v[38:39]
	v_mul_f64_e32 v[64:65], s[16:17], v[144:145]
	v_add_f64_e32 v[38:39], v[62:63], v[38:39]
	v_mul_f64_e32 v[62:63], s[4:5], v[177:178]
	s_delay_alu instid0(VALU_DEP_2) | instskip(SKIP_1) | instid1(VALU_DEP_2)
	v_add_f64_e32 v[38:39], v[60:61], v[38:39]
	v_mul_f64_e32 v[60:61], s[8:9], v[209:210]
	v_add_f64_e32 v[38:39], v[54:55], v[38:39]
	v_mul_f64_e32 v[54:55], s[20:21], v[163:164]
	s_delay_alu instid0(VALU_DEP_3) | instskip(NEXT) | instid1(VALU_DEP_3)
	v_add_f64_e64 v[60:61], v[60:61], -v[249:250]
	v_add_f64_e32 v[46:47], v[46:47], v[38:39]
	s_delay_alu instid0(VALU_DEP_3) | instskip(SKIP_2) | instid1(VALU_DEP_3)
	v_add_f64_e64 v[54:55], v[54:55], -v[207:208]
	v_add_f64_e32 v[38:39], v[44:45], v[36:37]
	v_mul_f64_e32 v[44:45], s[8:9], v[211:212]
	v_add_f64_e32 v[36:37], v[54:55], v[46:47]
	v_mul_f64_e32 v[46:47], s[4:5], v[181:182]
	v_mul_f64_e32 v[54:55], s[22:23], v[106:107]
	s_delay_alu instid0(VALU_DEP_4) | instskip(SKIP_1) | instid1(VALU_DEP_3)
	v_add_f64_e32 v[44:45], v[251:252], v[44:45]
	s_wait_loadcnt 0x0
	v_add_f64_e32 v[46:47], v[0:1], v[46:47]
	scratch_load_b64 v[0:1], off, off offset:392 th:TH_LOAD_LU ; 8-byte Folded Reload
	s_wait_loadcnt 0x0
	v_add_f64_e32 v[52:53], v[0:1], v[52:53]
	scratch_load_b64 v[0:1], off, off offset:280 th:TH_LOAD_LU ; 8-byte Folded Reload
	;; [unrolled: 3-line block ×3, first 2 shown]
	v_add_f64_e32 v[40:41], v[54:55], v[40:41]
	v_mul_f64_e32 v[54:55], s[20:21], v[239:240]
	s_delay_alu instid0(VALU_DEP_2) | instskip(NEXT) | instid1(VALU_DEP_2)
	v_add_f64_e32 v[40:41], v[52:53], v[40:41]
	v_add_f64_e64 v[54:55], v[54:55], -v[138:139]
	v_mul_f64_e32 v[52:53], s[18:19], v[130:131]
	s_delay_alu instid0(VALU_DEP_3) | instskip(SKIP_1) | instid1(VALU_DEP_3)
	v_add_f64_e32 v[40:41], v[46:47], v[40:41]
	v_mul_f64_e32 v[46:47], s[18:19], v[126:127]
	v_add_f64_e32 v[52:53], v[179:180], v[52:53]
	s_delay_alu instid0(VALU_DEP_3) | instskip(NEXT) | instid1(VALU_DEP_3)
	v_add_f64_e32 v[40:41], v[44:45], v[40:41]
	v_add_f64_e64 v[46:47], v[46:47], -v[175:176]
	v_mul_f64_e32 v[44:45], s[6:7], v[165:166]
	s_delay_alu instid0(VALU_DEP_3) | instskip(SKIP_1) | instid1(VALU_DEP_3)
	v_add_f64_e32 v[40:41], v[68:69], v[40:41]
	v_mul_f64_e32 v[68:69], s[10:11], v[241:242]
	v_add_f64_e32 v[44:45], v[217:218], v[44:45]
	s_delay_alu instid0(VALU_DEP_3) | instskip(SKIP_1) | instid1(VALU_DEP_4)
	v_add_f64_e32 v[40:41], v[52:53], v[40:41]
	v_mul_f64_e32 v[52:53], s[6:7], v[148:149]
	v_add_f64_e32 v[68:69], v[136:137], v[68:69]
	s_wait_loadcnt 0x0
	v_add_f64_e64 v[62:63], v[62:63], -v[0:1]
	scratch_load_b64 v[0:1], off, off offset:384 th:TH_LOAD_LU ; 8-byte Folded Reload
	s_wait_loadcnt 0x0
	v_add_f64_e64 v[64:65], v[64:65], -v[0:1]
	scratch_load_b64 v[0:1], off, off offset:272 th:TH_LOAD_LU ; 8-byte Folded Reload
	;; [unrolled: 3-line block ×3, first 2 shown]
	v_add_f64_e32 v[42:43], v[66:67], v[42:43]
	v_mul_f64_e32 v[66:67], s[20:21], v[104:105]
	s_delay_alu instid0(VALU_DEP_2) | instskip(SKIP_1) | instid1(VALU_DEP_2)
	v_add_f64_e32 v[42:43], v[64:65], v[42:43]
	v_mul_f64_e32 v[64:65], s[6:7], v[144:145]
	v_add_f64_e32 v[42:43], v[62:63], v[42:43]
	v_mul_f64_e32 v[62:63], s[8:9], v[177:178]
	s_delay_alu instid0(VALU_DEP_2) | instskip(SKIP_1) | instid1(VALU_DEP_2)
	v_add_f64_e32 v[42:43], v[60:61], v[42:43]
	v_mul_f64_e32 v[60:61], s[22:23], v[209:210]
	v_add_f64_e32 v[42:43], v[54:55], v[42:43]
	v_mul_f64_e32 v[54:55], s[6:7], v[163:164]
	s_delay_alu instid0(VALU_DEP_3) | instskip(NEXT) | instid1(VALU_DEP_3)
	v_add_f64_e64 v[60:61], v[60:61], -v[245:246]
	v_add_f64_e32 v[46:47], v[46:47], v[42:43]
	s_delay_alu instid0(VALU_DEP_3) | instskip(SKIP_2) | instid1(VALU_DEP_3)
	v_add_f64_e64 v[54:55], v[54:55], -v[215:216]
	v_add_f64_e32 v[42:43], v[44:45], v[40:41]
	v_mul_f64_e32 v[44:45], s[22:23], v[211:212]
	v_add_f64_e32 v[40:41], v[54:55], v[46:47]
	v_mul_f64_e32 v[46:47], s[8:9], v[181:182]
	v_mul_f64_e32 v[54:55], s[20:21], v[106:107]
	s_delay_alu instid0(VALU_DEP_4) | instskip(SKIP_1) | instid1(VALU_DEP_3)
	v_add_f64_e32 v[44:45], v[247:248], v[44:45]
	s_wait_loadcnt 0x0
	v_add_f64_e32 v[46:47], v[0:1], v[46:47]
	scratch_load_b64 v[0:1], off, off offset:376 th:TH_LOAD_LU ; 8-byte Folded Reload
	s_wait_loadcnt 0x0
	v_add_f64_e32 v[52:53], v[0:1], v[52:53]
	scratch_load_b64 v[0:1], off, off offset:264 th:TH_LOAD_LU ; 8-byte Folded Reload
	;; [unrolled: 3-line block ×3, first 2 shown]
	v_add_f64_e32 v[54:55], v[54:55], v[56:57]
	s_delay_alu instid0(VALU_DEP_1) | instskip(NEXT) | instid1(VALU_DEP_1)
	v_add_f64_e32 v[52:53], v[52:53], v[54:55]
	v_add_f64_e32 v[46:47], v[46:47], v[52:53]
	s_delay_alu instid0(VALU_DEP_1) | instskip(NEXT) | instid1(VALU_DEP_1)
	v_add_f64_e32 v[44:45], v[44:45], v[46:47]
	v_add_f64_e32 v[44:45], v[68:69], v[44:45]
	v_mul_f64_e32 v[68:69], s[18:19], v[241:242]
	s_delay_alu instid0(VALU_DEP_1)
	v_add_f64_e32 v[68:69], v[120:121], v[68:69]
	s_wait_loadcnt 0x0
	v_add_f64_e64 v[62:63], v[62:63], -v[0:1]
	scratch_load_b64 v[0:1], off, off offset:368 th:TH_LOAD_LU ; 8-byte Folded Reload
	s_wait_loadcnt 0x0
	v_add_f64_e64 v[64:65], v[64:65], -v[0:1]
	scratch_load_b64 v[0:1], off, off offset:256 th:TH_LOAD_LU ; 8-byte Folded Reload
	;; [unrolled: 3-line block ×3, first 2 shown]
	v_add_f64_e32 v[56:57], v[66:67], v[58:59]
	v_mul_f64_e32 v[58:59], s[10:11], v[239:240]
	v_mul_f64_e32 v[66:67], s[16:17], v[209:210]
	s_delay_alu instid0(VALU_DEP_3) | instskip(SKIP_1) | instid1(VALU_DEP_4)
	v_add_f64_e32 v[54:55], v[64:65], v[56:57]
	v_mul_f64_e32 v[56:57], s[4:5], v[130:131]
	v_add_f64_e64 v[58:59], v[58:59], -v[134:135]
	v_mul_f64_e32 v[64:65], s[16:17], v[211:212]
	s_delay_alu instid0(VALU_DEP_4) | instskip(NEXT) | instid1(VALU_DEP_4)
	v_add_f64_e32 v[52:53], v[62:63], v[54:55]
	v_add_f64_e32 v[56:57], v[171:172], v[56:57]
	v_mul_f64_e32 v[54:55], s[4:5], v[126:127]
	v_mul_f64_e32 v[62:63], s[10:11], v[177:178]
	s_delay_alu instid0(VALU_DEP_4) | instskip(SKIP_1) | instid1(VALU_DEP_4)
	v_add_f64_e32 v[46:47], v[60:61], v[52:53]
	v_mul_f64_e32 v[52:53], s[18:19], v[165:166]
	v_add_f64_e64 v[54:55], v[54:55], -v[169:170]
	v_add_f64_e32 v[44:45], v[56:57], v[44:45]
	v_mul_f64_e32 v[56:57], s[6:7], v[106:107]
	v_mul_f64_e32 v[60:61], s[8:9], v[144:145]
	v_add_f64_e32 v[46:47], v[58:59], v[46:47]
	v_add_f64_e32 v[52:53], v[221:222], v[52:53]
	v_mul_f64_e32 v[58:59], s[18:19], v[163:164]
	s_delay_alu instid0(VALU_DEP_3) | instskip(NEXT) | instid1(VALU_DEP_3)
	v_add_f64_e32 v[54:55], v[54:55], v[46:47]
	v_add_f64_e32 v[46:47], v[52:53], v[44:45]
	v_mul_f64_e32 v[52:53], s[10:11], v[181:182]
	s_delay_alu instid0(VALU_DEP_4) | instskip(NEXT) | instid1(VALU_DEP_1)
	v_add_f64_e64 v[58:59], v[58:59], -v[219:220]
	v_add_f64_e32 v[44:45], v[58:59], v[54:55]
	v_mul_f64_e32 v[54:55], s[8:9], v[148:149]
	v_mul_f64_e32 v[58:59], s[6:7], v[104:105]
	s_wait_loadcnt 0x0
	v_add_f64_e32 v[52:53], v[0:1], v[52:53]
	scratch_load_b64 v[0:1], off, off offset:344 th:TH_LOAD_LU ; 8-byte Folded Reload
	s_wait_loadcnt 0x0
	v_add_f64_e32 v[54:55], v[0:1], v[54:55]
	scratch_load_b64 v[0:1], off, off offset:232 th:TH_LOAD_LU ; 8-byte Folded Reload
	s_wait_loadcnt 0x0
	v_add_f64_e32 v[56:57], v[0:1], v[56:57]
	scratch_load_b64 v[0:1], off, off offset:224 th:TH_LOAD_LU ; 8-byte Folded Reload
	v_add_f64_e32 v[48:49], v[56:57], v[48:49]
	v_mul_f64_e32 v[56:57], s[18:19], v[239:240]
	s_delay_alu instid0(VALU_DEP_2) | instskip(NEXT) | instid1(VALU_DEP_2)
	v_add_f64_e32 v[48:49], v[54:55], v[48:49]
	v_add_f64_e64 v[56:57], v[56:57], -v[118:119]
	v_mul_f64_e32 v[54:55], s[20:21], v[130:131]
	s_delay_alu instid0(VALU_DEP_3) | instskip(SKIP_1) | instid1(VALU_DEP_3)
	v_add_f64_e32 v[48:49], v[52:53], v[48:49]
	v_mul_f64_e32 v[52:53], s[20:21], v[126:127]
	v_add_f64_e32 v[54:55], v[156:157], v[54:55]
	s_delay_alu instid0(VALU_DEP_2)
	v_add_f64_e64 v[52:53], v[52:53], -v[154:155]
	s_wait_loadcnt 0x0
	v_add_f64_e64 v[58:59], v[58:59], -v[0:1]
	scratch_load_b64 v[0:1], off, off offset:336 th:TH_LOAD_LU ; 8-byte Folded Reload
	v_add_f64_e32 v[50:51], v[58:59], v[50:51]
	v_mul_f64_e32 v[58:59], s[22:23], v[165:166]
	s_delay_alu instid0(VALU_DEP_1)
	v_add_f64_e32 v[58:59], v[197:198], v[58:59]
	s_wait_loadcnt 0x0
	v_add_f64_e64 v[60:61], v[60:61], -v[0:1]
	scratch_load_b64 v[0:1], off, off offset:440 th:TH_LOAD_LU ; 8-byte Folded Reload
	v_add_f64_e32 v[50:51], v[60:61], v[50:51]
	s_wait_loadcnt 0x0
	v_add_f64_e64 v[62:63], v[62:63], -v[0:1]
	scratch_load_b64 v[0:1], off, off offset:552 th:TH_LOAD_LU ; 8-byte Folded Reload
	v_add_f64_e32 v[50:51], v[62:63], v[50:51]
	s_wait_loadcnt 0x0
	v_add_f64_e32 v[64:65], v[0:1], v[64:65]
	scratch_load_b64 v[0:1], off, off offset:544 th:TH_LOAD_LU ; 8-byte Folded Reload
	v_add_f64_e32 v[48:49], v[64:65], v[48:49]
	s_delay_alu instid0(VALU_DEP_1) | instskip(NEXT) | instid1(VALU_DEP_1)
	v_add_f64_e32 v[48:49], v[68:69], v[48:49]
	v_add_f64_e32 v[48:49], v[54:55], v[48:49]
	s_wait_loadcnt 0x0
	v_add_f64_e64 v[66:67], v[66:67], -v[0:1]
	v_mul_lo_u16 v0, v7, 17
	s_delay_alu instid0(VALU_DEP_1) | instskip(NEXT) | instid1(VALU_DEP_1)
	v_and_b32_e32 v0, 0xffff, v0
	v_add_lshl_u32 v0, v235, v0, 4
	s_delay_alu instid0(VALU_DEP_4) | instskip(NEXT) | instid1(VALU_DEP_1)
	v_add_f64_e32 v[50:51], v[66:67], v[50:51]
	v_add_f64_e32 v[50:51], v[56:57], v[50:51]
	v_mul_f64_e32 v[56:57], s[22:23], v[163:164]
	s_delay_alu instid0(VALU_DEP_2) | instskip(NEXT) | instid1(VALU_DEP_2)
	v_add_f64_e32 v[52:53], v[52:53], v[50:51]
	v_add_f64_e64 v[56:57], v[56:57], -v[193:194]
	v_add_f64_e32 v[50:51], v[58:59], v[48:49]
	s_delay_alu instid0(VALU_DEP_2)
	v_add_f64_e32 v[48:49], v[56:57], v[52:53]
	ds_store_b128 v0, v[32:35] offset:32
	ds_store_b128 v0, v[36:39] offset:48
	;; [unrolled: 1-line block ×11, first 2 shown]
	scratch_load_b128 v[1:4], off, off offset:72 ; 16-byte Folded Reload
	s_wait_loadcnt 0x0
	ds_store_b128 v0, v[1:4] offset:192
	scratch_load_b128 v[1:4], off, off offset:56 ; 16-byte Folded Reload
	s_wait_loadcnt 0x0
	ds_store_b128 v0, v[1:4] offset:208
	;; [unrolled: 3-line block ×4, first 2 shown]
	ds_store_b128 v0, v[24:27]
	scratch_load_b128 v[1:4], off, off offset:8 ; 16-byte Folded Reload
	s_wait_loadcnt 0x0
	ds_store_b128 v0, v[1:4] offset:256
.LBB0_7:
	s_wait_alu 0xfffe
	s_or_b32 exec_lo, exec_lo, s24
	v_add_lshl_u32 v225, v235, v7, 4
	global_wb scope:SCOPE_SE
	s_wait_storecnt_dscnt 0x0
	s_barrier_signal -1
	s_barrier_wait -1
	global_inv scope:SCOPE_SE
	ds_load_b128 v[56:59], v225
	ds_load_b128 v[60:63], v225 offset:1088
	ds_load_b128 v[76:79], v225 offset:2992
	;; [unrolled: 1-line block ×7, first 2 shown]
	s_load_b64 s[8:9], s[0:1], 0x8
	v_cmp_gt_u16_e64 s0, 51, v7
	s_delay_alu instid0(VALU_DEP_1)
	s_and_saveexec_b32 s1, s0
	s_cbranch_execz .LBB0_9
; %bb.8:
	ds_load_b128 v[92:95], v225 offset:2176
	ds_load_b128 v[100:103], v225 offset:5168
	;; [unrolled: 1-line block ×4, first 2 shown]
.LBB0_9:
	s_wait_alu 0xfffe
	s_or_b32 exec_lo, exec_lo, s1
	v_add_nc_u16 v1, v7, 0x44
	v_and_b32_e32 v0, 0xff, v7
	s_delay_alu instid0(VALU_DEP_2) | instskip(NEXT) | instid1(VALU_DEP_2)
	v_and_b32_e32 v2, 0xff, v1
	v_mul_lo_u16 v0, 0xf1, v0
	s_delay_alu instid0(VALU_DEP_2) | instskip(NEXT) | instid1(VALU_DEP_2)
	v_mul_lo_u16 v2, 0xf1, v2
	v_lshrrev_b16 v0, 12, v0
	s_delay_alu instid0(VALU_DEP_2) | instskip(NEXT) | instid1(VALU_DEP_2)
	v_lshrrev_b16 v2, 12, v2
	v_mul_lo_u16 v3, v0, 17
	v_and_b32_e32 v0, 0xffff, v0
	s_delay_alu instid0(VALU_DEP_3) | instskip(NEXT) | instid1(VALU_DEP_3)
	v_mul_lo_u16 v4, v2, 17
	v_sub_nc_u16 v3, v7, v3
	v_and_b32_e32 v2, 0xffff, v2
	s_delay_alu instid0(VALU_DEP_4) | instskip(NEXT) | instid1(VALU_DEP_4)
	v_mul_u32_u24_e32 v0, 0x44, v0
	v_sub_nc_u16 v1, v1, v4
	s_delay_alu instid0(VALU_DEP_4) | instskip(SKIP_2) | instid1(VALU_DEP_4)
	v_and_b32_e32 v3, 0xff, v3
	v_add_nc_u16 v4, v7, 0x88
	v_mul_u32_u24_e32 v2, 0x44, v2
	v_and_b32_e32 v1, 0xff, v1
	s_wait_kmcnt 0x0
	v_mad_co_u64_u32 v[20:21], null, v3, 48, s[8:9]
	v_and_b32_e32 v5, 0xff, v4
	v_add_nc_u32_e32 v0, v0, v3
	v_mad_co_u64_u32 v[22:23], null, v1, 48, s[8:9]
	v_add_nc_u32_e32 v1, v2, v1
	s_delay_alu instid0(VALU_DEP_4) | instskip(NEXT) | instid1(VALU_DEP_4)
	v_mul_lo_u16 v5, 0xf1, v5
	v_add_lshl_u32 v228, v235, v0, 4
	s_clause 0x5
	global_load_b128 v[40:43], v[20:21], off
	global_load_b128 v[36:39], v[20:21], off offset:16
	global_load_b128 v[24:27], v[20:21], off offset:32
	global_load_b128 v[52:55], v[22:23], off
	global_load_b128 v[48:51], v[22:23], off offset:16
	global_load_b128 v[44:47], v[22:23], off offset:32
	v_add_lshl_u32 v0, v235, v1, 4
	v_lshrrev_b16 v5, 12, v5
	s_delay_alu instid0(VALU_DEP_1) | instskip(SKIP_1) | instid1(VALU_DEP_2)
	v_mul_lo_u16 v6, v5, 17
	v_and_b32_e32 v2, 0xffff, v5
	v_sub_nc_u16 v4, v4, v6
	s_delay_alu instid0(VALU_DEP_1) | instskip(NEXT) | instid1(VALU_DEP_1)
	v_and_b32_e32 v4, 0xff, v4
	v_mad_co_u64_u32 v[20:21], null, v4, 48, s[8:9]
	scratch_store_b32 off, v4, off offset:88 ; 4-byte Folded Spill
	s_clause 0x2
	global_load_b128 v[16:19], v[20:21], off
	global_load_b128 v[12:15], v[20:21], off offset:16
	global_load_b128 v[8:11], v[20:21], off offset:32
	s_load_b128 s[4:7], s[2:3], 0x0
	scratch_store_b32 off, v2, off offset:112 ; 4-byte Folded Spill
	s_wait_loadcnt_dscnt 0x805
	v_mul_f64_e32 v[104:105], v[78:79], v[42:43]
	v_mul_f64_e32 v[106:107], v[76:77], v[42:43]
	s_wait_loadcnt_dscnt 0x703
	v_mul_f64_e32 v[108:109], v[82:83], v[38:39]
	v_mul_f64_e32 v[110:111], v[80:81], v[38:39]
	;; [unrolled: 3-line block ×3, first 2 shown]
	s_wait_loadcnt 0x5
	v_mul_f64_e32 v[116:117], v[66:67], v[54:55]
	v_mul_f64_e32 v[118:119], v[64:65], v[54:55]
	s_wait_loadcnt 0x4
	v_mul_f64_e32 v[120:121], v[70:71], v[50:51]
	v_mul_f64_e32 v[122:123], v[68:69], v[50:51]
	s_wait_loadcnt_dscnt 0x300
	v_mul_f64_e32 v[124:125], v[74:75], v[46:47]
	v_mul_f64_e32 v[126:127], v[72:73], v[46:47]
	scratch_store_b128 off, v[24:27], off offset:96 ; 16-byte Folded Spill
	s_wait_loadcnt 0x2
	scratch_store_b128 off, v[16:19], off offset:168 ; 16-byte Folded Spill
	s_wait_loadcnt 0x1
	;; [unrolled: 2-line block ×3, first 2 shown]
	scratch_store_b128 off, v[8:11], off offset:136 ; 16-byte Folded Spill
	global_wb scope:SCOPE_SE
	s_wait_storecnt 0x0
	v_fma_f64 v[76:77], v[76:77], v[40:41], -v[104:105]
	v_fma_f64 v[78:79], v[78:79], v[40:41], v[106:107]
	v_fma_f64 v[80:81], v[80:81], v[36:37], -v[108:109]
	v_fma_f64 v[82:83], v[82:83], v[36:37], v[110:111]
	;; [unrolled: 2-line block ×6, first 2 shown]
	v_mul_f64_e32 v[74:75], v[102:103], v[18:19]
	v_mul_f64_e32 v[106:107], v[98:99], v[14:15]
	;; [unrolled: 1-line block ×3, first 2 shown]
	s_wait_kmcnt 0x0
	s_barrier_signal -1
	s_barrier_wait -1
	global_inv scope:SCOPE_SE
	v_add_f64_e64 v[108:109], v[56:57], -v[80:81]
	v_add_f64_e64 v[110:111], v[58:59], -v[82:83]
	;; [unrolled: 1-line block ×4, first 2 shown]
	v_mul_f64_e32 v[86:87], v[88:89], v[10:11]
	v_add_f64_e64 v[112:113], v[60:61], -v[64:65]
	v_add_f64_e64 v[114:115], v[62:63], -v[68:69]
	;; [unrolled: 1-line block ×4, first 2 shown]
	v_mul_f64_e32 v[68:69], v[100:101], v[18:19]
	v_mul_f64_e32 v[70:71], v[96:97], v[14:15]
	v_fma_f64 v[64:65], v[100:101], v[16:17], -v[74:75]
	v_fma_f64 v[74:75], v[96:97], v[12:13], -v[106:107]
	v_fma_f64 v[88:89], v[88:89], v[8:9], -v[116:117]
	v_fma_f64 v[96:97], v[56:57], 2.0, -v[108:109]
	v_fma_f64 v[106:107], v[58:59], 2.0, -v[110:111]
	;; [unrolled: 1-line block ×4, first 2 shown]
	v_fma_f64 v[86:87], v[90:91], v[8:9], v[86:87]
	v_fma_f64 v[118:119], v[60:61], 2.0, -v[112:113]
	v_fma_f64 v[120:121], v[62:63], 2.0, -v[114:115]
	;; [unrolled: 1-line block ×4, first 2 shown]
	v_fma_f64 v[56:57], v[102:103], v[16:17], v[68:69]
	v_fma_f64 v[66:67], v[98:99], v[12:13], v[70:71]
	v_add_f64_e64 v[68:69], v[108:109], -v[82:83]
	v_add_f64_e64 v[58:59], v[92:93], -v[74:75]
	v_add_f64_e32 v[70:71], v[110:111], v[80:81]
	v_add_f64_e64 v[72:73], v[112:113], -v[72:73]
	v_add_f64_e32 v[74:75], v[114:115], v[84:85]
	v_add_f64_e64 v[76:77], v[96:97], -v[76:77]
	v_add_f64_e64 v[78:79], v[106:107], -v[78:79]
	;; [unrolled: 1-line block ×7, first 2 shown]
	v_fma_f64 v[84:85], v[108:109], 2.0, -v[68:69]
	v_fma_f64 v[86:87], v[110:111], 2.0, -v[70:71]
	;; [unrolled: 1-line block ×8, first 2 shown]
	ds_store_b128 v228, v[76:79] offset:544
	ds_store_b128 v228, v[68:71] offset:816
	ds_store_b128 v228, v[100:103]
	ds_store_b128 v228, v[84:87] offset:272
	ds_store_b128 v0, v[104:107]
	ds_store_b128 v0, v[88:91] offset:272
	ds_store_b128 v0, v[80:83] offset:544
	v_add_f64_e64 v[96:97], v[58:59], -v[66:67]
	v_add_f64_e32 v[98:99], v[60:61], v[62:63]
	scratch_store_b32 off, v0, off offset:120 ; 4-byte Folded Spill
	ds_store_b128 v0, v[72:75] offset:816
	s_and_saveexec_b32 s1, s0
	s_cbranch_execz .LBB0_11
; %bb.10:
	s_clause 0x1
	scratch_load_b32 v0, off, off offset:112
	scratch_load_b32 v1, off, off offset:88
	v_fma_f64 v[68:69], v[94:95], 2.0, -v[60:61]
	v_fma_f64 v[56:57], v[56:57], 2.0, -v[66:67]
	;; [unrolled: 1-line block ×6, first 2 shown]
	v_add_f64_e64 v[64:65], v[68:69], -v[56:57]
	s_delay_alu instid0(VALU_DEP_4) | instskip(NEXT) | instid1(VALU_DEP_2)
	v_add_f64_e64 v[62:63], v[66:67], -v[62:63]
	v_fma_f64 v[68:69], v[68:69], 2.0, -v[64:65]
	s_delay_alu instid0(VALU_DEP_2) | instskip(SKIP_3) | instid1(VALU_DEP_1)
	v_fma_f64 v[66:67], v[66:67], 2.0, -v[62:63]
	s_wait_loadcnt 0x1
	v_mul_u32_u24_e32 v0, 0x44, v0
	s_wait_loadcnt 0x0
	v_add_nc_u32_e32 v0, v0, v1
	s_delay_alu instid0(VALU_DEP_1)
	v_add_lshl_u32 v0, v235, v0, 4
	ds_store_b128 v0, v[66:69]
	ds_store_b128 v0, v[58:61] offset:272
	ds_store_b128 v0, v[62:65] offset:544
	;; [unrolled: 1-line block ×3, first 2 shown]
.LBB0_11:
	s_wait_alu 0xfffe
	s_or_b32 exec_lo, exec_lo, s1
	v_mad_co_u64_u32 v[88:89], null, 0xa0, v7, s[8:9]
	global_wb scope:SCOPE_SE
	s_wait_storecnt_dscnt 0x0
	s_barrier_signal -1
	s_barrier_wait -1
	global_inv scope:SCOPE_SE
	s_mov_b32 s26, 0xf8bb580b
	s_mov_b32 s20, 0x43842ef
	s_clause 0x3
	global_load_b128 v[64:67], v[88:89], off offset:816
	global_load_b128 v[56:59], v[88:89], off offset:960
	;; [unrolled: 1-line block ×4, first 2 shown]
	ds_load_b128 v[72:75], v225 offset:1088
	ds_load_b128 v[76:79], v225 offset:10880
	ds_load_b128 v[100:103], v225
	s_mov_b32 s24, 0xbb3a28a1
	s_mov_b32 s28, 0xfd768dbf
	s_mov_b32 s27, 0xbfe14ced
	s_mov_b32 s23, 0xbfed1bb4
	s_mov_b32 s22, 0x8eee2c13
	s_mov_b32 s21, 0xbfefac9e
	s_mov_b32 s25, 0xbfe82f19
	s_mov_b32 s29, 0xbfd207e7
	s_mov_b32 s18, 0x8764f0ba
	s_mov_b32 s10, 0xd9c712b6
	s_mov_b32 s16, 0x640f44db
	s_mov_b32 s8, 0x7f775887
	s_mov_b32 s2, 0x9bcd5057
	s_mov_b32 s19, 0x3feaeb8c
	s_mov_b32 s11, 0x3fda9628
	s_mov_b32 s17, 0xbfc2375f
	s_mov_b32 s9, 0xbfe4f49e
	s_mov_b32 s3, 0xbfeeb42a
	s_mov_b32 s31, 0x3fd207e7
	s_wait_alu 0xfffe
	s_mov_b32 s30, s28
	s_mov_b32 s35, 0x3fefac9e
	;; [unrolled: 1-line block ×5, first 2 shown]
	s_wait_loadcnt_dscnt 0x302
	v_mul_f64_e32 v[80:81], v[74:75], v[66:67]
	v_mul_f64_e32 v[82:83], v[72:73], v[66:67]
	s_wait_loadcnt_dscnt 0x201
	v_mul_f64_e32 v[86:87], v[78:79], v[58:59]
	v_mul_f64_e32 v[84:85], v[76:77], v[58:59]
	s_delay_alu instid0(VALU_DEP_4) | instskip(NEXT) | instid1(VALU_DEP_4)
	v_fma_f64 v[112:113], v[72:73], v[64:65], -v[80:81]
	v_fma_f64 v[114:115], v[74:75], v[64:65], v[82:83]
	ds_load_b128 v[72:75], v225 offset:2176
	ds_load_b128 v[80:83], v225 offset:3264
	v_fma_f64 v[146:147], v[76:77], v[56:57], -v[86:87]
	v_fma_f64 v[144:145], v[78:79], v[56:57], v[84:85]
	s_wait_loadcnt_dscnt 0x101
	v_mul_f64_e32 v[76:77], v[74:75], v[70:71]
	v_add_f64_e32 v[187:188], v[100:101], v[112:113]
	v_add_f64_e32 v[189:190], v[102:103], v[114:115]
	;; [unrolled: 1-line block ×4, first 2 shown]
	v_fma_f64 v[148:149], v[72:73], v[68:69], -v[76:77]
	v_mul_f64_e32 v[72:73], v[72:73], v[70:71]
	s_delay_alu instid0(VALU_DEP_1) | instskip(SKIP_4) | instid1(VALU_DEP_1)
	v_fma_f64 v[150:151], v[74:75], v[68:69], v[72:73]
	ds_load_b128 v[72:75], v225 offset:9792
	ds_load_b128 v[90:93], v225 offset:8704
	s_wait_loadcnt_dscnt 0x1
	v_mul_f64_e32 v[76:77], v[72:73], v[62:63]
	v_fma_f64 v[152:153], v[74:75], v[60:61], v[76:77]
	v_mul_f64_e32 v[74:75], v[74:75], v[62:63]
	s_delay_alu instid0(VALU_DEP_2) | instskip(NEXT) | instid1(VALU_DEP_2)
	v_add_f64_e32 v[199:200], v[150:151], v[152:153]
	v_fma_f64 v[154:155], v[72:73], v[60:61], -v[74:75]
	s_clause 0x1
	global_load_b128 v[76:79], v[88:89], off offset:848
	global_load_b128 v[72:75], v[88:89], off offset:864
	v_add_f64_e32 v[193:194], v[148:149], v[154:155]
	v_add_f64_e64 v[197:198], v[148:149], -v[154:155]
	s_delay_alu instid0(VALU_DEP_1) | instskip(SKIP_4) | instid1(VALU_DEP_2)
	v_mul_f64_e32 v[201:202], s[22:23], v[197:198]
	v_mul_f64_e32 v[245:246], s[24:25], v[197:198]
	s_wait_alu 0xfffe
	v_mul_f64_e32 v[24:25], s[30:31], v[197:198]
	v_mul_f64_e32 v[8:9], s[34:35], v[197:198]
	v_fma_f64 v[26:27], v[199:200], s[2:3], v[24:25]
	s_delay_alu instid0(VALU_DEP_2) | instskip(SKIP_3) | instid1(VALU_DEP_1)
	v_fma_f64 v[10:11], v[199:200], s[16:17], v[8:9]
	v_fma_f64 v[8:9], v[199:200], s[16:17], -v[8:9]
	s_wait_loadcnt 0x1
	v_mul_f64_e32 v[84:85], v[82:83], v[78:79]
	v_fma_f64 v[156:157], v[80:81], v[76:77], -v[84:85]
	v_mul_f64_e32 v[80:81], v[80:81], v[78:79]
	s_delay_alu instid0(VALU_DEP_1)
	v_fma_f64 v[158:159], v[82:83], v[76:77], v[80:81]
	s_clause 0x1
	global_load_b128 v[84:87], v[88:89], off offset:928
	global_load_b128 v[80:83], v[88:89], off offset:912
	s_wait_loadcnt_dscnt 0x100
	v_mul_f64_e32 v[94:95], v[90:91], v[86:87]
	s_delay_alu instid0(VALU_DEP_1) | instskip(SKIP_1) | instid1(VALU_DEP_2)
	v_fma_f64 v[161:162], v[92:93], v[84:85], v[94:95]
	v_mul_f64_e32 v[92:93], v[92:93], v[86:87]
	v_add_f64_e64 v[203:204], v[158:159], -v[161:162]
	s_delay_alu instid0(VALU_DEP_2)
	v_fma_f64 v[163:164], v[90:91], v[84:85], -v[92:93]
	ds_load_b128 v[90:93], v225 offset:4352
	ds_load_b128 v[104:107], v225 offset:5440
	v_add_f64_e32 v[211:212], v[158:159], v[161:162]
	s_wait_dscnt 0x1
	v_mul_f64_e32 v[94:95], v[92:93], v[74:75]
	v_mul_f64_e32 v[207:208], s[20:21], v[203:204]
	v_add_f64_e32 v[205:206], v[156:157], v[163:164]
	v_add_f64_e64 v[209:210], v[156:157], -v[163:164]
	v_mul_f64_e32 v[247:248], s[30:31], v[203:204]
	v_fma_f64 v[165:166], v[90:91], v[72:73], -v[94:95]
	v_mul_f64_e32 v[90:91], v[90:91], v[74:75]
	s_delay_alu instid0(VALU_DEP_4) | instskip(SKIP_2) | instid1(VALU_DEP_4)
	v_mul_f64_e32 v[213:214], s[20:21], v[209:210]
	v_mul_f64_e32 v[249:250], s[30:31], v[209:210]
	;; [unrolled: 1-line block ×3, first 2 shown]
	v_fma_f64 v[167:168], v[92:93], v[72:73], v[90:91]
	ds_load_b128 v[90:93], v225 offset:7616
	ds_load_b128 v[108:111], v225 offset:6528
	s_wait_loadcnt_dscnt 0x1
	v_mul_f64_e32 v[94:95], v[92:93], v[82:83]
	v_fma_f64 v[14:15], v[211:212], s[18:19], v[12:13]
	s_delay_alu instid0(VALU_DEP_2) | instskip(SKIP_1) | instid1(VALU_DEP_2)
	v_fma_f64 v[169:170], v[90:91], v[80:81], -v[94:95]
	v_mul_f64_e32 v[90:91], v[90:91], v[82:83]
	v_add_f64_e32 v[217:218], v[165:166], v[169:170]
	s_delay_alu instid0(VALU_DEP_2)
	v_fma_f64 v[171:172], v[92:93], v[80:81], v[90:91]
	s_clause 0x1
	global_load_b128 v[92:95], v[88:89], off offset:880
	global_load_b128 v[88:91], v[88:89], off offset:896
	v_add_f64_e64 v[221:222], v[165:166], -v[169:170]
	v_add_f64_e64 v[215:216], v[167:168], -v[171:172]
	v_add_f64_e32 v[223:224], v[167:168], v[171:172]
	s_delay_alu instid0(VALU_DEP_3)
	v_mul_f64_e32 v[229:230], s[24:25], v[221:222]
	v_mul_f64_e32 v[253:254], s[34:35], v[221:222]
	v_mul_f64_e32 v[4:5], s[26:27], v[221:222]
	v_mul_f64_e32 v[16:17], s[28:29], v[221:222]
	v_mul_f64_e32 v[219:220], s[24:25], v[215:216]
	v_mul_f64_e32 v[251:252], s[34:35], v[215:216]
	s_delay_alu instid0(VALU_DEP_4) | instskip(NEXT) | instid1(VALU_DEP_4)
	v_fma_f64 v[6:7], v[223:224], s[18:19], v[4:5]
	v_fma_f64 v[18:19], v[223:224], s[2:3], v[16:17]
	v_fma_f64 v[4:5], v[223:224], s[18:19], -v[4:5]
	s_wait_loadcnt 0x1
	v_mul_f64_e32 v[116:117], v[106:107], v[94:95]
	s_delay_alu instid0(VALU_DEP_1) | instskip(SKIP_1) | instid1(VALU_DEP_1)
	v_fma_f64 v[173:174], v[104:105], v[92:93], -v[116:117]
	v_mul_f64_e32 v[104:105], v[104:105], v[94:95]
	v_fma_f64 v[175:176], v[106:107], v[92:93], v[104:105]
	s_wait_loadcnt_dscnt 0x0
	v_mul_f64_e32 v[104:105], v[110:111], v[90:91]
	s_delay_alu instid0(VALU_DEP_1) | instskip(SKIP_1) | instid1(VALU_DEP_2)
	v_fma_f64 v[177:178], v[108:109], v[88:89], -v[104:105]
	v_mul_f64_e32 v[104:105], v[108:109], v[90:91]
	v_add_f64_e32 v[233:234], v[173:174], v[177:178]
	s_delay_alu instid0(VALU_DEP_2) | instskip(SKIP_2) | instid1(VALU_DEP_3)
	v_fma_f64 v[179:180], v[110:111], v[88:89], v[104:105]
	v_add_f64_e64 v[104:105], v[114:115], -v[144:145]
	v_add_f64_e64 v[237:238], v[173:174], -v[177:178]
	;; [unrolled: 1-line block ×3, first 2 shown]
	s_delay_alu instid0(VALU_DEP_3)
	v_mul_f64_e32 v[106:107], s[26:27], v[104:105]
	v_mul_f64_e32 v[108:109], s[22:23], v[104:105]
	;; [unrolled: 1-line block ×5, first 2 shown]
	v_add_f64_e32 v[239:240], v[175:176], v[179:180]
	v_mul_f64_e32 v[241:242], s[28:29], v[237:238]
	v_mul_f64_e32 v[20:21], s[36:37], v[237:238]
	v_mul_f64_e32 v[235:236], s[28:29], v[231:232]
	v_fma_f64 v[120:121], v[118:119], s[18:19], -v[106:107]
	v_fma_f64 v[106:107], v[118:119], s[18:19], v[106:107]
	v_fma_f64 v[122:123], v[118:119], s[10:11], -v[108:109]
	v_fma_f64 v[108:109], v[118:119], s[10:11], v[108:109]
	;; [unrolled: 2-line block ×5, first 2 shown]
	v_add_f64_e64 v[118:119], v[112:113], -v[146:147]
	v_mul_f64_e32 v[226:227], s[36:37], v[231:232]
	v_fma_f64 v[22:23], v[239:240], s[18:19], v[20:21]
	v_add_f64_e32 v[191:192], v[100:101], v[120:121]
	v_add_f64_e32 v[106:107], v[100:101], v[106:107]
	;; [unrolled: 1-line block ×6, first 2 shown]
	v_mul_f64_e32 v[130:131], s[26:27], v[118:119]
	v_mul_f64_e32 v[132:133], s[22:23], v[118:119]
	;; [unrolled: 1-line block ×5, first 2 shown]
	v_fma_f64 v[185:186], v[138:139], s[18:19], -v[130:131]
	v_fma_f64 v[140:141], v[138:139], s[10:11], v[132:133]
	v_fma_f64 v[132:133], v[138:139], s[10:11], -v[132:133]
	v_fma_f64 v[142:143], v[138:139], s[16:17], v[134:135]
	;; [unrolled: 2-line block ×5, first 2 shown]
	v_add_f64_e32 v[138:139], v[100:101], v[108:109]
	v_fma_f64 v[108:109], v[205:206], s[16:17], v[207:208]
	v_add_f64_e32 v[112:113], v[102:103], v[185:186]
	v_add_f64_e32 v[120:121], v[102:103], v[140:141]
	;; [unrolled: 1-line block ×10, first 2 shown]
	v_add_f64_e64 v[130:131], v[150:151], -v[152:153]
	v_add_f64_e32 v[140:141], v[100:101], v[110:111]
	v_add_f64_e32 v[181:182], v[100:101], v[116:117]
	;; [unrolled: 1-line block ×3, first 2 shown]
	v_fma_f64 v[110:111], v[199:200], s[8:9], v[245:246]
	v_add_f64_e32 v[26:27], v[26:27], v[124:125]
	v_mul_f64_e32 v[124:125], s[36:37], v[197:198]
	v_add_f64_e32 v[10:11], v[10:11], v[142:143]
	v_mul_f64_e32 v[142:143], s[26:27], v[203:204]
	v_mul_f64_e32 v[197:198], s[20:21], v[231:232]
	v_add_f64_e32 v[8:9], v[8:9], v[136:137]
	v_mul_f64_e32 v[195:196], s[22:23], v[130:131]
	v_mul_f64_e32 v[243:244], s[24:25], v[130:131]
	s_mov_b32 s23, 0x3fed1bb4
	v_add_f64_e32 v[110:111], v[110:111], v[120:121]
	s_wait_alu 0xfffe
	v_mul_f64_e32 v[0:1], s[22:23], v[209:210]
	v_mul_f64_e32 v[28:29], s[22:23], v[203:204]
	;; [unrolled: 1-line block ×3, first 2 shown]
	v_fma_f64 v[120:121], v[199:200], s[18:19], v[124:125]
	v_add_f64_e32 v[10:11], v[14:15], v[10:11]
	v_fma_f64 v[118:119], v[205:206], s[18:19], -v[142:143]
	v_mul_f64_e32 v[14:15], s[28:29], v[215:216]
	v_fma_f64 v[104:105], v[193:194], s[10:11], v[195:196]
	v_fma_f64 v[2:3], v[211:212], s[10:11], v[0:1]
	v_fma_f64 v[30:31], v[205:206], s[10:11], -v[28:29]
	v_fma_f64 v[34:35], v[239:240], s[10:11], v[32:33]
	v_fma_f64 v[0:1], v[211:212], s[10:11], -v[0:1]
	v_add_f64_e32 v[120:121], v[120:121], v[183:184]
	v_add_f64_e32 v[10:11], v[18:19], v[10:11]
	v_mul_f64_e32 v[18:19], s[22:23], v[231:232]
	v_mul_f64_e32 v[183:184], s[22:23], v[221:222]
	v_add_f64_e32 v[104:105], v[104:105], v[106:107]
	v_fma_f64 v[106:107], v[199:200], s[10:11], -v[201:202]
	v_add_f64_e32 v[2:3], v[2:3], v[26:27]
	v_mul_f64_e32 v[26:27], s[26:27], v[215:216]
	s_delay_alu instid0(VALU_DEP_4) | instskip(NEXT) | instid1(VALU_DEP_4)
	v_add_f64_e32 v[104:105], v[108:109], v[104:105]
	v_add_f64_e32 v[106:107], v[106:107], v[112:113]
	v_fma_f64 v[108:109], v[211:212], s[16:17], -v[213:214]
	v_fma_f64 v[112:113], v[205:206], s[2:3], -v[247:248]
	v_add_f64_e32 v[2:3], v[6:7], v[2:3]
	v_mul_f64_e32 v[6:7], s[24:25], v[231:232]
	s_delay_alu instid0(VALU_DEP_4) | instskip(SKIP_1) | instid1(VALU_DEP_1)
	v_add_f64_e32 v[106:107], v[108:109], v[106:107]
	v_fma_f64 v[108:109], v[217:218], s[8:9], v[219:220]
	v_add_f64_e32 v[104:105], v[108:109], v[104:105]
	v_fma_f64 v[108:109], v[223:224], s[8:9], -v[229:230]
	s_delay_alu instid0(VALU_DEP_1) | instskip(SKIP_1) | instid1(VALU_DEP_1)
	v_add_f64_e32 v[106:107], v[108:109], v[106:107]
	v_fma_f64 v[108:109], v[233:234], s[2:3], v[235:236]
	v_add_f64_e32 v[104:105], v[108:109], v[104:105]
	v_fma_f64 v[108:109], v[239:240], s[2:3], -v[241:242]
	s_delay_alu instid0(VALU_DEP_1) | instskip(SKIP_1) | instid1(VALU_DEP_1)
	v_add_f64_e32 v[106:107], v[108:109], v[106:107]
	v_fma_f64 v[108:109], v[193:194], s[8:9], -v[243:244]
	v_add_f64_e32 v[108:109], v[108:109], v[114:115]
	s_delay_alu instid0(VALU_DEP_1) | instskip(SKIP_1) | instid1(VALU_DEP_1)
	v_add_f64_e32 v[108:109], v[112:113], v[108:109]
	v_fma_f64 v[112:113], v[211:212], s[2:3], v[249:250]
	v_add_f64_e32 v[110:111], v[112:113], v[110:111]
	v_fma_f64 v[112:113], v[217:218], s[16:17], -v[251:252]
	s_delay_alu instid0(VALU_DEP_1) | instskip(SKIP_1) | instid1(VALU_DEP_1)
	v_add_f64_e32 v[108:109], v[112:113], v[108:109]
	v_fma_f64 v[112:113], v[223:224], s[16:17], v[253:254]
	v_add_f64_e32 v[110:111], v[112:113], v[110:111]
	v_fma_f64 v[112:113], v[233:234], s[18:19], -v[226:227]
	s_delay_alu instid0(VALU_DEP_2) | instskip(SKIP_1) | instid1(VALU_DEP_3)
	v_add_f64_e32 v[110:111], v[22:23], v[110:111]
	v_mul_f64_e32 v[22:23], s[30:31], v[130:131]
	v_add_f64_e32 v[108:109], v[112:113], v[108:109]
	s_delay_alu instid0(VALU_DEP_2) | instskip(NEXT) | instid1(VALU_DEP_1)
	v_fma_f64 v[112:113], v[193:194], s[2:3], -v[22:23]
	v_add_f64_e32 v[112:113], v[112:113], v[122:123]
	s_delay_alu instid0(VALU_DEP_1) | instskip(SKIP_1) | instid1(VALU_DEP_1)
	v_add_f64_e32 v[30:31], v[30:31], v[112:113]
	v_fma_f64 v[112:113], v[217:218], s[18:19], -v[26:27]
	v_add_f64_e32 v[30:31], v[112:113], v[30:31]
	v_fma_f64 v[112:113], v[233:234], s[8:9], -v[6:7]
	s_delay_alu instid0(VALU_DEP_1) | instskip(SKIP_1) | instid1(VALU_DEP_1)
	v_add_f64_e32 v[112:113], v[112:113], v[30:31]
	v_mul_f64_e32 v[30:31], s[24:25], v[237:238]
	v_fma_f64 v[114:115], v[239:240], s[8:9], v[30:31]
	s_delay_alu instid0(VALU_DEP_1) | instskip(SKIP_1) | instid1(VALU_DEP_1)
	v_add_f64_e32 v[114:115], v[114:115], v[2:3]
	v_mul_f64_e32 v[2:3], s[34:35], v[130:131]
	v_fma_f64 v[116:117], v[193:194], s[16:17], -v[2:3]
	v_fma_f64 v[2:3], v[193:194], s[16:17], v[2:3]
	s_delay_alu instid0(VALU_DEP_2) | instskip(SKIP_2) | instid1(VALU_DEP_4)
	v_add_f64_e32 v[116:117], v[116:117], v[126:127]
	v_mul_f64_e32 v[126:127], s[24:25], v[203:204]
	v_mul_f64_e32 v[203:204], s[20:21], v[237:238]
	v_add_f64_e32 v[2:3], v[2:3], v[181:182]
	s_delay_alu instid0(VALU_DEP_4) | instskip(SKIP_2) | instid1(VALU_DEP_2)
	v_add_f64_e32 v[116:117], v[118:119], v[116:117]
	v_fma_f64 v[118:119], v[217:218], s[2:3], -v[14:15]
	v_fma_f64 v[122:123], v[205:206], s[8:9], -v[126:127]
	v_add_f64_e32 v[116:117], v[118:119], v[116:117]
	v_fma_f64 v[118:119], v[233:234], s[10:11], -v[18:19]
	s_delay_alu instid0(VALU_DEP_1) | instskip(SKIP_3) | instid1(VALU_DEP_2)
	v_add_f64_e32 v[116:117], v[118:119], v[116:117]
	v_add_f64_e32 v[118:119], v[34:35], v[10:11]
	v_mul_f64_e32 v[10:11], s[36:37], v[130:131]
	v_mul_f64_e32 v[130:131], s[22:23], v[215:216]
	v_fma_f64 v[34:35], v[193:194], s[18:19], -v[10:11]
	v_fma_f64 v[10:11], v[193:194], s[18:19], v[10:11]
	s_delay_alu instid0(VALU_DEP_2) | instskip(SKIP_1) | instid1(VALU_DEP_3)
	v_add_f64_e32 v[34:35], v[34:35], v[128:129]
	v_mul_f64_e32 v[128:129], s[24:25], v[209:210]
	v_add_f64_e32 v[10:11], v[10:11], v[100:101]
	v_fma_f64 v[100:101], v[205:206], s[8:9], v[126:127]
	v_fma_f64 v[126:127], v[239:240], s[16:17], -v[203:204]
	v_add_f64_e32 v[34:35], v[122:123], v[34:35]
	v_fma_f64 v[122:123], v[211:212], s[8:9], v[128:129]
	s_delay_alu instid0(VALU_DEP_4) | instskip(SKIP_1) | instid1(VALU_DEP_3)
	v_add_f64_e32 v[10:11], v[100:101], v[10:11]
	v_fma_f64 v[100:101], v[211:212], s[8:9], -v[128:129]
	v_add_f64_e32 v[120:121], v[122:123], v[120:121]
	v_fma_f64 v[122:123], v[217:218], s[10:11], -v[130:131]
	s_delay_alu instid0(VALU_DEP_1) | instskip(SKIP_1) | instid1(VALU_DEP_1)
	v_add_f64_e32 v[34:35], v[122:123], v[34:35]
	v_fma_f64 v[122:123], v[223:224], s[10:11], v[183:184]
	v_add_f64_e32 v[122:123], v[122:123], v[120:121]
	v_fma_f64 v[120:121], v[233:234], s[16:17], -v[197:198]
	s_delay_alu instid0(VALU_DEP_1) | instskip(SKIP_1) | instid1(VALU_DEP_1)
	v_add_f64_e32 v[120:121], v[120:121], v[34:35]
	v_fma_f64 v[34:35], v[239:240], s[16:17], v[203:204]
	v_add_f64_e32 v[122:123], v[34:35], v[122:123]
	v_fma_f64 v[34:35], v[199:200], s[18:19], -v[124:125]
	s_delay_alu instid0(VALU_DEP_1) | instskip(NEXT) | instid1(VALU_DEP_1)
	v_add_f64_e32 v[34:35], v[34:35], v[185:186]
	v_add_f64_e32 v[34:35], v[100:101], v[34:35]
	v_fma_f64 v[100:101], v[217:218], s[10:11], v[130:131]
	s_delay_alu instid0(VALU_DEP_1) | instskip(SKIP_1) | instid1(VALU_DEP_1)
	v_add_f64_e32 v[10:11], v[100:101], v[10:11]
	v_fma_f64 v[100:101], v[223:224], s[10:11], -v[183:184]
	v_add_f64_e32 v[34:35], v[100:101], v[34:35]
	v_fma_f64 v[100:101], v[233:234], s[16:17], v[197:198]
	s_delay_alu instid0(VALU_DEP_2) | instskip(NEXT) | instid1(VALU_DEP_2)
	v_add_f64_e32 v[126:127], v[126:127], v[34:35]
	v_add_f64_e32 v[124:125], v[100:101], v[10:11]
	v_fma_f64 v[10:11], v[205:206], s[18:19], v[142:143]
	s_delay_alu instid0(VALU_DEP_1) | instskip(SKIP_2) | instid1(VALU_DEP_2)
	v_add_f64_e32 v[2:3], v[10:11], v[2:3]
	v_fma_f64 v[10:11], v[211:212], s[18:19], -v[12:13]
	v_fma_f64 v[12:13], v[239:240], s[10:11], -v[32:33]
	v_add_f64_e32 v[8:9], v[10:11], v[8:9]
	v_fma_f64 v[10:11], v[217:218], s[2:3], v[14:15]
	s_delay_alu instid0(VALU_DEP_1) | instskip(SKIP_1) | instid1(VALU_DEP_1)
	v_add_f64_e32 v[2:3], v[10:11], v[2:3]
	v_fma_f64 v[10:11], v[223:224], s[2:3], -v[16:17]
	v_add_f64_e32 v[8:9], v[10:11], v[8:9]
	v_fma_f64 v[10:11], v[233:234], s[10:11], v[18:19]
	s_delay_alu instid0(VALU_DEP_2) | instskip(SKIP_1) | instid1(VALU_DEP_3)
	v_add_f64_e32 v[130:131], v[12:13], v[8:9]
	v_fma_f64 v[8:9], v[199:200], s[2:3], -v[24:25]
	v_add_f64_e32 v[128:129], v[10:11], v[2:3]
	v_fma_f64 v[2:3], v[193:194], s[2:3], v[22:23]
	v_fma_f64 v[10:11], v[205:206], s[10:11], v[28:29]
	s_delay_alu instid0(VALU_DEP_4) | instskip(NEXT) | instid1(VALU_DEP_3)
	v_add_f64_e32 v[8:9], v[8:9], v[134:135]
	v_add_f64_e32 v[2:3], v[2:3], v[140:141]
	s_delay_alu instid0(VALU_DEP_2) | instskip(SKIP_1) | instid1(VALU_DEP_3)
	v_add_f64_e32 v[0:1], v[0:1], v[8:9]
	v_fma_f64 v[8:9], v[217:218], s[18:19], v[26:27]
	v_add_f64_e32 v[2:3], v[10:11], v[2:3]
	v_fma_f64 v[10:11], v[223:224], s[8:9], v[229:230]
	s_delay_alu instid0(VALU_DEP_4) | instskip(SKIP_4) | instid1(VALU_DEP_3)
	v_add_f64_e32 v[0:1], v[4:5], v[0:1]
	v_fma_f64 v[4:5], v[233:234], s[8:9], v[6:7]
	v_fma_f64 v[6:7], v[239:240], s[8:9], -v[30:31]
	v_add_f64_e32 v[2:3], v[8:9], v[2:3]
	v_fma_f64 v[8:9], v[217:218], s[8:9], -v[219:220]
	v_add_f64_e32 v[142:143], v[6:7], v[0:1]
	v_fma_f64 v[0:1], v[193:194], s[8:9], v[243:244]
	s_delay_alu instid0(VALU_DEP_4) | instskip(SKIP_4) | instid1(VALU_DEP_4)
	v_add_f64_e32 v[140:141], v[4:5], v[2:3]
	v_fma_f64 v[2:3], v[199:200], s[8:9], -v[245:246]
	v_fma_f64 v[4:5], v[205:206], s[2:3], v[247:248]
	v_fma_f64 v[6:7], v[239:240], s[18:19], -v[20:21]
	v_add_f64_e32 v[0:1], v[0:1], v[138:139]
	v_add_f64_e32 v[2:3], v[2:3], v[132:133]
	s_delay_alu instid0(VALU_DEP_2) | instskip(SKIP_1) | instid1(VALU_DEP_1)
	v_add_f64_e32 v[0:1], v[4:5], v[0:1]
	v_fma_f64 v[4:5], v[211:212], s[2:3], -v[249:250]
	v_add_f64_e32 v[2:3], v[4:5], v[2:3]
	v_fma_f64 v[4:5], v[217:218], s[16:17], v[251:252]
	s_delay_alu instid0(VALU_DEP_1) | instskip(SKIP_1) | instid1(VALU_DEP_1)
	v_add_f64_e32 v[0:1], v[4:5], v[0:1]
	v_fma_f64 v[4:5], v[223:224], s[16:17], -v[253:254]
	v_add_f64_e32 v[2:3], v[4:5], v[2:3]
	v_fma_f64 v[4:5], v[233:234], s[18:19], v[226:227]
	scratch_load_b32 v227, off, off         ; 4-byte Folded Reload
	v_add_f64_e32 v[138:139], v[6:7], v[2:3]
	v_add_f64_e32 v[136:137], v[4:5], v[0:1]
	v_fma_f64 v[0:1], v[193:194], s[10:11], -v[195:196]
	v_fma_f64 v[4:5], v[205:206], s[16:17], -v[207:208]
	v_fma_f64 v[2:3], v[199:200], s[10:11], v[201:202]
	v_fma_f64 v[6:7], v[211:212], s[16:17], v[213:214]
	s_delay_alu instid0(VALU_DEP_4) | instskip(NEXT) | instid1(VALU_DEP_3)
	v_add_f64_e32 v[0:1], v[0:1], v[191:192]
	v_add_f64_e32 v[2:3], v[2:3], v[102:103]
	s_delay_alu instid0(VALU_DEP_2) | instskip(SKIP_1) | instid1(VALU_DEP_3)
	v_add_f64_e32 v[0:1], v[4:5], v[0:1]
	v_fma_f64 v[4:5], v[233:234], s[2:3], -v[235:236]
	v_add_f64_e32 v[2:3], v[6:7], v[2:3]
	v_fma_f64 v[6:7], v[239:240], s[2:3], v[241:242]
	s_delay_alu instid0(VALU_DEP_4) | instskip(NEXT) | instid1(VALU_DEP_3)
	v_add_f64_e32 v[0:1], v[8:9], v[0:1]
	v_add_f64_e32 v[2:3], v[10:11], v[2:3]
	s_delay_alu instid0(VALU_DEP_2) | instskip(SKIP_1) | instid1(VALU_DEP_3)
	v_add_f64_e32 v[132:133], v[4:5], v[0:1]
	v_add_f64_e32 v[0:1], v[187:188], v[148:149]
	;; [unrolled: 1-line block ×4, first 2 shown]
	s_delay_alu instid0(VALU_DEP_3) | instskip(NEXT) | instid1(VALU_DEP_2)
	v_add_f64_e32 v[0:1], v[0:1], v[156:157]
	v_add_f64_e32 v[2:3], v[2:3], v[158:159]
	s_delay_alu instid0(VALU_DEP_2) | instskip(NEXT) | instid1(VALU_DEP_2)
	v_add_f64_e32 v[0:1], v[0:1], v[165:166]
	v_add_f64_e32 v[2:3], v[2:3], v[167:168]
	s_delay_alu instid0(VALU_DEP_2) | instskip(NEXT) | instid1(VALU_DEP_2)
	;; [unrolled: 3-line block ×6, first 2 shown]
	v_add_f64_e32 v[0:1], v[0:1], v[154:155]
	v_add_f64_e32 v[2:3], v[2:3], v[152:153]
	s_delay_alu instid0(VALU_DEP_2)
	v_add_f64_e32 v[100:101], v[0:1], v[146:147]
	scratch_load_b32 v0, off, off offset:4  ; 4-byte Folded Reload
	v_add_f64_e32 v[102:103], v[2:3], v[144:145]
	s_wait_loadcnt 0x0
	v_lshl_add_u32 v226, v227, 4, v0
	ds_store_b128 v226, v[108:111] offset:2176
	ds_store_b128 v226, v[112:115] offset:3264
	;; [unrolled: 1-line block ×10, first 2 shown]
	ds_store_b128 v226, v[100:103]
	global_wb scope:SCOPE_SE
	s_wait_dscnt 0x0
	s_barrier_signal -1
	s_barrier_wait -1
	global_inv scope:SCOPE_SE
	s_and_saveexec_b32 s1, vcc_lo
	s_cbranch_execz .LBB0_13
; %bb.12:
	global_load_b128 v[144:147], v255, s[12:13] offset:11968
	s_add_nc_u64 s[2:3], s[12:13], 0x2ec0
	s_clause 0x3
	global_load_b128 v[148:151], v255, s[2:3] offset:704
	global_load_b128 v[152:155], v255, s[2:3] offset:1408
	;; [unrolled: 1-line block ×4, first 2 shown]
	ds_load_b128 v[165:168], v226
	ds_load_b128 v[169:172], v226 offset:704
	ds_load_b128 v[173:176], v226 offset:1408
	global_load_b128 v[177:180], v255, s[2:3] offset:3520
	s_wait_loadcnt_dscnt 0x401
	v_mul_f64_e32 v[4:5], v[171:172], v[150:151]
	v_mul_f64_e32 v[0:1], v[167:168], v[146:147]
	;; [unrolled: 1-line block ×4, first 2 shown]
	s_delay_alu instid0(VALU_DEP_4) | instskip(NEXT) | instid1(VALU_DEP_4)
	v_fma_f64 v[169:170], v[169:170], v[148:149], -v[4:5]
	v_fma_f64 v[165:166], v[165:166], v[144:145], -v[0:1]
	s_delay_alu instid0(VALU_DEP_4)
	v_fma_f64 v[167:168], v[167:168], v[144:145], v[2:3]
	ds_load_b128 v[144:147], v226 offset:2112
	s_wait_loadcnt_dscnt 0x301
	v_mul_f64_e32 v[0:1], v[175:176], v[154:155]
	v_mul_f64_e32 v[2:3], v[173:174], v[154:155]
	v_fma_f64 v[171:172], v[171:172], v[148:149], v[6:7]
	s_wait_loadcnt_dscnt 0x200
	v_mul_f64_e32 v[4:5], v[146:147], v[158:159]
	v_mul_f64_e32 v[6:7], v[144:145], v[158:159]
	v_fma_f64 v[148:149], v[173:174], v[152:153], -v[0:1]
	v_fma_f64 v[150:151], v[175:176], v[152:153], v[2:3]
	ds_load_b128 v[152:155], v226 offset:2816
	ds_load_b128 v[173:176], v226 offset:3520
	v_fma_f64 v[144:145], v[144:145], v[156:157], -v[4:5]
	v_fma_f64 v[146:147], v[146:147], v[156:157], v[6:7]
	s_wait_loadcnt_dscnt 0x101
	v_mul_f64_e32 v[0:1], v[154:155], v[163:164]
	global_load_b128 v[156:159], v255, s[2:3] offset:4224
	v_mul_f64_e32 v[2:3], v[152:153], v[163:164]
	v_fma_f64 v[152:153], v[152:153], v[161:162], -v[0:1]
	s_wait_loadcnt_dscnt 0x100
	v_mul_f64_e32 v[0:1], v[175:176], v[179:180]
	s_delay_alu instid0(VALU_DEP_3) | instskip(SKIP_3) | instid1(VALU_DEP_2)
	v_fma_f64 v[154:155], v[154:155], v[161:162], v[2:3]
	global_load_b128 v[161:164], v255, s[2:3] offset:4928
	v_mul_f64_e32 v[2:3], v[173:174], v[179:180]
	v_fma_f64 v[173:174], v[173:174], v[177:178], -v[0:1]
	v_fma_f64 v[175:176], v[175:176], v[177:178], v[2:3]
	ds_load_b128 v[177:180], v226 offset:4224
	ds_load_b128 v[181:184], v226 offset:4928
	s_wait_loadcnt_dscnt 0x101
	v_mul_f64_e32 v[0:1], v[179:180], v[158:159]
	v_mul_f64_e32 v[2:3], v[177:178], v[158:159]
	s_delay_alu instid0(VALU_DEP_2) | instskip(NEXT) | instid1(VALU_DEP_2)
	v_fma_f64 v[177:178], v[177:178], v[156:157], -v[0:1]
	v_fma_f64 v[179:180], v[179:180], v[156:157], v[2:3]
	s_wait_loadcnt_dscnt 0x0
	v_mul_f64_e32 v[0:1], v[183:184], v[163:164]
	v_mul_f64_e32 v[2:3], v[181:182], v[163:164]
	s_delay_alu instid0(VALU_DEP_2) | instskip(NEXT) | instid1(VALU_DEP_2)
	v_fma_f64 v[156:157], v[181:182], v[161:162], -v[0:1]
	v_fma_f64 v[158:159], v[183:184], v[161:162], v[2:3]
	s_clause 0x1
	global_load_b128 v[161:164], v255, s[2:3] offset:5632
	global_load_b128 v[181:184], v255, s[2:3] offset:6336
	ds_load_b128 v[185:188], v226 offset:5632
	ds_load_b128 v[189:192], v226 offset:6336
	s_wait_loadcnt_dscnt 0x101
	v_mul_f64_e32 v[0:1], v[187:188], v[163:164]
	v_mul_f64_e32 v[2:3], v[185:186], v[163:164]
	s_delay_alu instid0(VALU_DEP_2) | instskip(NEXT) | instid1(VALU_DEP_2)
	v_fma_f64 v[185:186], v[185:186], v[161:162], -v[0:1]
	v_fma_f64 v[187:188], v[187:188], v[161:162], v[2:3]
	s_wait_loadcnt_dscnt 0x0
	v_mul_f64_e32 v[0:1], v[191:192], v[183:184]
	v_mul_f64_e32 v[2:3], v[189:190], v[183:184]
	s_delay_alu instid0(VALU_DEP_2) | instskip(NEXT) | instid1(VALU_DEP_2)
	v_fma_f64 v[161:162], v[189:190], v[181:182], -v[0:1]
	v_fma_f64 v[163:164], v[191:192], v[181:182], v[2:3]
	s_clause 0x1
	global_load_b128 v[181:184], v255, s[2:3] offset:7040
	global_load_b128 v[189:192], v255, s[2:3] offset:7744
	ds_load_b128 v[193:196], v226 offset:7040
	ds_load_b128 v[197:200], v226 offset:7744
	s_wait_loadcnt_dscnt 0x101
	v_mul_f64_e32 v[0:1], v[195:196], v[183:184]
	v_mul_f64_e32 v[2:3], v[193:194], v[183:184]
	s_delay_alu instid0(VALU_DEP_2) | instskip(NEXT) | instid1(VALU_DEP_2)
	v_fma_f64 v[193:194], v[193:194], v[181:182], -v[0:1]
	v_fma_f64 v[195:196], v[195:196], v[181:182], v[2:3]
	s_wait_loadcnt_dscnt 0x0
	v_mul_f64_e32 v[0:1], v[199:200], v[191:192]
	v_mul_f64_e32 v[2:3], v[197:198], v[191:192]
	s_delay_alu instid0(VALU_DEP_2) | instskip(NEXT) | instid1(VALU_DEP_2)
	v_fma_f64 v[181:182], v[197:198], v[189:190], -v[0:1]
	v_fma_f64 v[183:184], v[199:200], v[189:190], v[2:3]
	s_clause 0x1
	global_load_b128 v[189:192], v255, s[2:3] offset:8448
	global_load_b128 v[197:200], v255, s[2:3] offset:9152
	ds_load_b128 v[201:204], v226 offset:8448
	ds_load_b128 v[205:208], v226 offset:9152
	s_wait_loadcnt_dscnt 0x101
	v_mul_f64_e32 v[0:1], v[203:204], v[191:192]
	v_mul_f64_e32 v[2:3], v[201:202], v[191:192]
	s_delay_alu instid0(VALU_DEP_2) | instskip(NEXT) | instid1(VALU_DEP_2)
	v_fma_f64 v[201:202], v[201:202], v[189:190], -v[0:1]
	v_fma_f64 v[203:204], v[203:204], v[189:190], v[2:3]
	s_wait_loadcnt_dscnt 0x0
	v_mul_f64_e32 v[0:1], v[207:208], v[199:200]
	v_mul_f64_e32 v[2:3], v[205:206], v[199:200]
	s_delay_alu instid0(VALU_DEP_2) | instskip(NEXT) | instid1(VALU_DEP_2)
	v_fma_f64 v[189:190], v[205:206], v[197:198], -v[0:1]
	v_fma_f64 v[191:192], v[207:208], v[197:198], v[2:3]
	s_clause 0x1
	global_load_b128 v[197:200], v255, s[2:3] offset:9856
	global_load_b128 v[205:208], v255, s[2:3] offset:10560
	ds_load_b128 v[209:212], v226 offset:9856
	ds_load_b128 v[213:216], v226 offset:10560
	s_wait_loadcnt_dscnt 0x101
	v_mul_f64_e32 v[0:1], v[211:212], v[199:200]
	v_mul_f64_e32 v[2:3], v[209:210], v[199:200]
	s_delay_alu instid0(VALU_DEP_2) | instskip(NEXT) | instid1(VALU_DEP_2)
	v_fma_f64 v[209:210], v[209:210], v[197:198], -v[0:1]
	v_fma_f64 v[211:212], v[211:212], v[197:198], v[2:3]
	s_wait_loadcnt_dscnt 0x0
	v_mul_f64_e32 v[0:1], v[215:216], v[207:208]
	v_mul_f64_e32 v[2:3], v[213:214], v[207:208]
	s_delay_alu instid0(VALU_DEP_2) | instskip(NEXT) | instid1(VALU_DEP_2)
	v_fma_f64 v[197:198], v[213:214], v[205:206], -v[0:1]
	v_fma_f64 v[199:200], v[215:216], v[205:206], v[2:3]
	global_load_b128 v[205:208], v255, s[2:3] offset:11264
	ds_load_b128 v[213:216], v226 offset:11264
	s_wait_loadcnt_dscnt 0x0
	v_mul_f64_e32 v[0:1], v[215:216], v[207:208]
	v_mul_f64_e32 v[2:3], v[213:214], v[207:208]
	s_delay_alu instid0(VALU_DEP_2) | instskip(NEXT) | instid1(VALU_DEP_2)
	v_fma_f64 v[213:214], v[213:214], v[205:206], -v[0:1]
	v_fma_f64 v[215:216], v[215:216], v[205:206], v[2:3]
	ds_store_b128 v226, v[165:168]
	ds_store_b128 v226, v[169:172] offset:704
	ds_store_b128 v226, v[148:151] offset:1408
	;; [unrolled: 1-line block ×16, first 2 shown]
.LBB0_13:
	s_wait_alu 0xfffe
	s_or_b32 exec_lo, exec_lo, s1
	global_wb scope:SCOPE_SE
	s_wait_dscnt 0x0
	s_barrier_signal -1
	s_barrier_wait -1
	global_inv scope:SCOPE_SE
	s_and_saveexec_b32 s1, vcc_lo
	s_cbranch_execz .LBB0_15
; %bb.14:
	ds_load_b128 v[100:103], v226
	ds_load_b128 v[132:135], v226 offset:704
	ds_load_b128 v[108:111], v226 offset:1408
	;; [unrolled: 1-line block ×12, first 2 shown]
	s_wait_dscnt 0x0
	scratch_store_b128 off, v[0:3], off offset:72 ; 16-byte Folded Spill
	ds_load_b128 v[0:3], v226 offset:9152
	s_wait_dscnt 0x0
	scratch_store_b128 off, v[0:3], off offset:56 ; 16-byte Folded Spill
	ds_load_b128 v[0:3], v226 offset:9856
	;; [unrolled: 3-line block ×4, first 2 shown]
	s_wait_dscnt 0x0
	scratch_store_b128 off, v[0:3], off offset:8 ; 16-byte Folded Spill
.LBB0_15:
	s_wait_alu 0xfffe
	s_or_b32 exec_lo, exec_lo, s1
	s_clause 0x3
	scratch_load_b128 v[229:232], off, off offset:8
	scratch_load_b128 v[237:240], off, off offset:24
	;; [unrolled: 1-line block ×4, first 2 shown]
	s_mov_b32 s8, 0x6c9a05f6
	s_mov_b32 s9, 0xbfe9895b
	;; [unrolled: 1-line block ×8, first 2 shown]
	scratch_load_b128 v[249:252], off, off offset:72 ; 16-byte Folded Reload
	s_mov_b32 s22, 0x5d8e7cdc
	s_mov_b32 s23, 0x3fd71e95
	;; [unrolled: 1-line block ×3, first 2 shown]
	s_wait_alu 0xfffe
	s_mov_b32 s28, s22
	s_mov_b32 s18, 0x370991
	;; [unrolled: 1-line block ×10, first 2 shown]
	s_wait_alu 0xfffe
	s_mov_b32 s52, s30
	s_mov_b32 s26, 0x3259b75e
	;; [unrolled: 1-line block ×3, first 2 shown]
	v_add_f64_e64 v[195:196], v[126:127], -v[98:99]
	s_mov_b32 s48, 0x2a9d6da3
	s_mov_b32 s49, 0x3fe58eea
	;; [unrolled: 1-line block ×3, first 2 shown]
	s_wait_alu 0xfffe
	s_mov_b32 s38, s48
	v_add_f64_e32 v[191:192], v[96:97], v[124:125]
	s_mov_b32 s34, 0x75d4884
	s_mov_b32 s35, 0x3fe7a5f6
	v_add_f64_e32 v[201:202], v[98:99], v[126:127]
	v_add_f64_e64 v[213:214], v[124:125], -v[96:97]
	v_add_f64_e64 v[211:212], v[130:131], -v[106:107]
	s_mov_b32 s40, 0xacd6c6b4
	s_mov_b32 s41, 0xbfc7851a
	v_add_f64_e32 v[203:204], v[128:129], v[104:105]
	s_mov_b32 s36, 0x7faef3
	s_mov_b32 s37, 0xbfef7484
	v_add_f64_e32 v[207:208], v[130:131], v[106:107]
	v_add_f64_e64 v[221:222], v[128:129], -v[104:105]
	v_add_f64_e64 v[219:220], v[142:143], -v[138:139]
	s_mov_b32 s44, 0x7c9e640b
	s_mov_b32 s45, 0x3feca52d
	v_add_f64_e32 v[209:210], v[140:141], v[136:137]
	s_mov_b32 s42, 0x2b2883cd
	s_mov_b32 s43, 0x3fdc86fa
	v_add_f64_e32 v[215:216], v[142:143], v[138:139]
	v_add_f64_e64 v[223:224], v[140:141], -v[136:137]
	s_mov_b32 s59, 0x3fe9895b
	s_mov_b32 s58, s8
	;; [unrolled: 1-line block ×5, first 2 shown]
	s_wait_alu 0xfffe
	s_mov_b32 s56, s40
	s_mov_b32 s55, 0x3fe0d888
	;; [unrolled: 1-line block ×5, first 2 shown]
	s_delay_alu instid0(VALU_DEP_2)
	v_mul_f64_e32 v[253:254], s[10:11], v[215:216]
	s_wait_loadcnt 0x4
	v_add_f64_e64 v[199:200], v[134:135], -v[231:232]
	v_add_f64_e32 v[193:194], v[229:230], v[132:133]
	s_wait_loadcnt 0x3
	v_add_f64_e64 v[163:164], v[110:111], -v[239:240]
	v_add_f64_e32 v[161:162], v[237:238], v[108:109]
	v_add_f64_e32 v[165:166], v[239:240], v[110:111]
	;; [unrolled: 1-line block ×3, first 2 shown]
	v_add_f64_e64 v[235:236], v[132:133], -v[229:230]
	v_add_f64_e64 v[171:172], v[108:109], -v[237:238]
	s_wait_loadcnt 0x2
	v_add_f64_e64 v[169:170], v[114:115], -v[243:244]
	v_add_f64_e32 v[167:168], v[112:113], v[241:242]
	v_add_f64_e32 v[173:174], v[114:115], v[243:244]
	v_add_f64_e64 v[179:180], v[112:113], -v[241:242]
	s_wait_loadcnt 0x1
	v_add_f64_e64 v[177:178], v[118:119], -v[247:248]
	v_add_f64_e32 v[175:176], v[116:117], v[245:246]
	v_add_f64_e32 v[181:182], v[118:119], v[247:248]
	;; [unrolled: 5-line block ×3, first 2 shown]
	v_add_f64_e64 v[197:198], v[120:121], -v[249:250]
	v_mul_f64_e32 v[0:1], s[8:9], v[199:200]
	v_mul_f64_e32 v[205:206], s[24:25], v[199:200]
	;; [unrolled: 1-line block ×6, first 2 shown]
	scratch_store_b64 off, v[0:1], off offset:184 ; 8-byte Folded Spill
	v_fma_f64 v[0:1], v[193:194], s[2:3], -v[0:1]
	scratch_store_b64 off, v[2:3], off offset:192 ; 8-byte Folded Spill
	v_fma_f64 v[2:3], v[161:162], s[10:11], -v[2:3]
	scratch_store_b64 off, v[4:5], off offset:200 ; 8-byte Folded Spill
	v_fma_f64 v[4:5], v[171:172], s[16:17], v[4:5]
	v_fma_f64 v[12:13], v[171:172], s[28:29], v[10:11]
	v_add_f64_e32 v[0:1], v[100:101], v[0:1]
	s_delay_alu instid0(VALU_DEP_1) | instskip(SKIP_3) | instid1(VALU_DEP_1)
	v_add_f64_e32 v[0:1], v[2:3], v[0:1]
	v_mul_f64_e32 v[2:3], s[2:3], v[233:234]
	scratch_store_b64 off, v[2:3], off offset:232 ; 8-byte Folded Spill
	v_fma_f64 v[2:3], v[235:236], s[8:9], v[2:3]
	v_add_f64_e32 v[2:3], v[102:103], v[2:3]
	s_delay_alu instid0(VALU_DEP_1) | instskip(SKIP_3) | instid1(VALU_DEP_1)
	v_add_f64_e32 v[2:3], v[4:5], v[2:3]
	v_mul_f64_e32 v[4:5], s[28:29], v[169:170]
	scratch_store_b64 off, v[4:5], off offset:208 ; 8-byte Folded Spill
	v_fma_f64 v[4:5], v[167:168], s[18:19], -v[4:5]
	v_add_f64_e32 v[0:1], v[4:5], v[0:1]
	v_mul_f64_e32 v[4:5], s[18:19], v[173:174]
	scratch_store_b64 off, v[4:5], off offset:224 ; 8-byte Folded Spill
	v_fma_f64 v[4:5], v[179:180], s[28:29], v[4:5]
	s_delay_alu instid0(VALU_DEP_1) | instskip(SKIP_3) | instid1(VALU_DEP_1)
	v_add_f64_e32 v[2:3], v[4:5], v[2:3]
	v_mul_f64_e32 v[4:5], s[24:25], v[177:178]
	scratch_store_b64 off, v[4:5], off offset:216 ; 8-byte Folded Spill
	v_fma_f64 v[4:5], v[175:176], s[20:21], -v[4:5]
	v_add_f64_e32 v[0:1], v[4:5], v[0:1]
	v_mul_f64_e32 v[4:5], s[20:21], v[181:182]
	scratch_store_b64 off, v[4:5], off offset:248 ; 8-byte Folded Spill
	v_fma_f64 v[4:5], v[187:188], s[24:25], v[4:5]
	;; [unrolled: 9-line block ×5, first 2 shown]
	s_delay_alu instid0(VALU_DEP_1) | instskip(SKIP_3) | instid1(VALU_DEP_1)
	v_add_f64_e32 v[2:3], v[4:5], v[2:3]
	v_mul_f64_e32 v[4:5], s[44:45], v[219:220]
	scratch_store_b64 off, v[4:5], off offset:288 ; 8-byte Folded Spill
	v_fma_f64 v[4:5], v[209:210], s[42:43], -v[4:5]
	v_add_f64_e32 v[144:145], v[4:5], v[0:1]
	v_mul_f64_e32 v[0:1], s[42:43], v[215:216]
	v_mul_f64_e32 v[4:5], s[42:43], v[165:166]
	s_clause 0x1
	scratch_store_b64 off, v[0:1], off offset:304
	scratch_store_b64 off, v[4:5], off offset:328
	v_fma_f64 v[0:1], v[223:224], s[44:45], v[0:1]
	v_fma_f64 v[4:5], v[171:172], s[44:45], v[4:5]
	s_delay_alu instid0(VALU_DEP_2) | instskip(SKIP_2) | instid1(VALU_DEP_2)
	v_add_f64_e32 v[146:147], v[0:1], v[2:3]
	v_fma_f64 v[0:1], v[193:194], s[20:21], -v[205:206]
	v_mul_f64_e32 v[2:3], s[44:45], v[163:164]
	v_add_f64_e32 v[0:1], v[100:101], v[0:1]
	scratch_store_b64 off, v[2:3], off offset:312 ; 8-byte Folded Spill
	v_fma_f64 v[2:3], v[161:162], s[42:43], -v[2:3]
	s_delay_alu instid0(VALU_DEP_1) | instskip(SKIP_1) | instid1(VALU_DEP_1)
	v_add_f64_e32 v[0:1], v[2:3], v[0:1]
	v_fma_f64 v[2:3], v[235:236], s[24:25], v[217:218]
	v_add_f64_e32 v[2:3], v[102:103], v[2:3]
	s_delay_alu instid0(VALU_DEP_1) | instskip(SKIP_3) | instid1(VALU_DEP_1)
	v_add_f64_e32 v[2:3], v[4:5], v[2:3]
	v_mul_f64_e32 v[4:5], s[30:31], v[169:170]
	scratch_store_b64 off, v[4:5], off offset:320 ; 8-byte Folded Spill
	v_fma_f64 v[4:5], v[167:168], s[26:27], -v[4:5]
	v_add_f64_e32 v[0:1], v[4:5], v[0:1]
	v_mul_f64_e32 v[4:5], s[26:27], v[173:174]
	scratch_store_b64 off, v[4:5], off offset:360 ; 8-byte Folded Spill
	v_fma_f64 v[4:5], v[179:180], s[30:31], v[4:5]
	s_delay_alu instid0(VALU_DEP_1) | instskip(SKIP_3) | instid1(VALU_DEP_1)
	v_add_f64_e32 v[2:3], v[4:5], v[2:3]
	v_mul_f64_e32 v[4:5], s[58:59], v[177:178]
	scratch_store_b64 off, v[4:5], off offset:336 ; 8-byte Folded Spill
	v_fma_f64 v[4:5], v[175:176], s[2:3], -v[4:5]
	v_add_f64_e32 v[0:1], v[4:5], v[0:1]
	v_mul_f64_e32 v[4:5], s[2:3], v[181:182]
	scratch_store_b64 off, v[4:5], off offset:384 ; 8-byte Folded Spill
	v_fma_f64 v[4:5], v[187:188], s[58:59], v[4:5]
	;; [unrolled: 9-line block ×5, first 2 shown]
	s_delay_alu instid0(VALU_DEP_1)
	v_add_f64_e32 v[2:3], v[4:5], v[2:3]
	v_mul_f64_e32 v[4:5], s[46:47], v[219:220]
	scratch_store_b64 off, v[4:5], off offset:376 ; 8-byte Folded Spill
	v_fma_f64 v[4:5], v[209:210], s[10:11], -v[4:5]
	global_wb scope:SCOPE_SE
	s_wait_storecnt 0x0
	s_barrier_signal -1
	s_barrier_wait -1
	global_inv scope:SCOPE_SE
	v_add_f64_e32 v[148:149], v[4:5], v[0:1]
	v_fma_f64 v[0:1], v[223:224], s[46:47], v[253:254]
	v_mul_f64_e32 v[4:5], s[22:23], v[163:164]
	s_delay_alu instid0(VALU_DEP_2) | instskip(SKIP_1) | instid1(VALU_DEP_3)
	v_add_f64_e32 v[150:151], v[0:1], v[2:3]
	v_mul_f64_e32 v[0:1], s[40:41], v[199:200]
	v_fma_f64 v[6:7], v[161:162], s[18:19], v[4:5]
	v_fma_f64 v[4:5], v[161:162], s[18:19], -v[4:5]
	s_delay_alu instid0(VALU_DEP_3) | instskip(SKIP_1) | instid1(VALU_DEP_2)
	v_fma_f64 v[2:3], v[193:194], s[36:37], v[0:1]
	v_fma_f64 v[0:1], v[193:194], s[36:37], -v[0:1]
	v_add_f64_e32 v[2:3], v[100:101], v[2:3]
	s_delay_alu instid0(VALU_DEP_2) | instskip(NEXT) | instid1(VALU_DEP_2)
	v_add_f64_e32 v[0:1], v[100:101], v[0:1]
	v_add_f64_e32 v[2:3], v[6:7], v[2:3]
	v_mul_f64_e32 v[6:7], s[36:37], v[233:234]
	s_delay_alu instid0(VALU_DEP_3) | instskip(NEXT) | instid1(VALU_DEP_2)
	v_add_f64_e32 v[0:1], v[4:5], v[0:1]
	v_fma_f64 v[8:9], v[235:236], s[56:57], v[6:7]
	v_fma_f64 v[4:5], v[235:236], s[40:41], v[6:7]
	;; [unrolled: 1-line block ×3, first 2 shown]
	s_delay_alu instid0(VALU_DEP_3) | instskip(NEXT) | instid1(VALU_DEP_3)
	v_add_f64_e32 v[8:9], v[102:103], v[8:9]
	v_add_f64_e32 v[4:5], v[102:103], v[4:5]
	s_delay_alu instid0(VALU_DEP_2) | instskip(SKIP_1) | instid1(VALU_DEP_3)
	v_add_f64_e32 v[8:9], v[12:13], v[8:9]
	v_mul_f64_e32 v[12:13], s[24:25], v[169:170]
	v_add_f64_e32 v[4:5], v[6:7], v[4:5]
	s_delay_alu instid0(VALU_DEP_2) | instskip(SKIP_1) | instid1(VALU_DEP_2)
	v_fma_f64 v[14:15], v[167:168], s[20:21], v[12:13]
	v_fma_f64 v[6:7], v[167:168], s[20:21], -v[12:13]
	v_add_f64_e32 v[2:3], v[14:15], v[2:3]
	v_mul_f64_e32 v[14:15], s[20:21], v[173:174]
	s_delay_alu instid0(VALU_DEP_3) | instskip(NEXT) | instid1(VALU_DEP_2)
	v_add_f64_e32 v[0:1], v[6:7], v[0:1]
	v_fma_f64 v[16:17], v[179:180], s[54:55], v[14:15]
	v_fma_f64 v[6:7], v[179:180], s[24:25], v[14:15]
	s_delay_alu instid0(VALU_DEP_2) | instskip(SKIP_1) | instid1(VALU_DEP_3)
	v_add_f64_e32 v[8:9], v[16:17], v[8:9]
	v_mul_f64_e32 v[16:17], s[48:49], v[177:178]
	v_add_f64_e32 v[4:5], v[6:7], v[4:5]
	s_delay_alu instid0(VALU_DEP_2) | instskip(SKIP_1) | instid1(VALU_DEP_2)
	v_fma_f64 v[18:19], v[175:176], s[34:35], v[16:17]
	v_fma_f64 v[6:7], v[175:176], s[34:35], -v[16:17]
	v_add_f64_e32 v[2:3], v[18:19], v[2:3]
	v_mul_f64_e32 v[18:19], s[34:35], v[181:182]
	s_delay_alu instid0(VALU_DEP_3) | instskip(NEXT) | instid1(VALU_DEP_2)
	v_add_f64_e32 v[0:1], v[6:7], v[0:1]
	v_fma_f64 v[20:21], v[187:188], s[38:39], v[18:19]
	v_fma_f64 v[6:7], v[187:188], s[48:49], v[18:19]
	s_delay_alu instid0(VALU_DEP_2) | instskip(SKIP_1) | instid1(VALU_DEP_3)
	v_add_f64_e32 v[8:9], v[20:21], v[8:9]
	v_mul_f64_e32 v[20:21], s[8:9], v[185:186]
	v_add_f64_e32 v[4:5], v[6:7], v[4:5]
	s_delay_alu instid0(VALU_DEP_2) | instskip(SKIP_1) | instid1(VALU_DEP_2)
	v_fma_f64 v[22:23], v[183:184], s[2:3], v[20:21]
	v_fma_f64 v[6:7], v[183:184], s[2:3], -v[20:21]
	v_add_f64_e32 v[2:3], v[22:23], v[2:3]
	v_mul_f64_e32 v[22:23], s[2:3], v[189:190]
	s_delay_alu instid0(VALU_DEP_3) | instskip(NEXT) | instid1(VALU_DEP_2)
	v_add_f64_e32 v[0:1], v[6:7], v[0:1]
	v_fma_f64 v[24:25], v[197:198], s[58:59], v[22:23]
	v_fma_f64 v[6:7], v[197:198], s[8:9], v[22:23]
	s_delay_alu instid0(VALU_DEP_2) | instskip(SKIP_1) | instid1(VALU_DEP_3)
	v_add_f64_e32 v[8:9], v[24:25], v[8:9]
	v_mul_f64_e32 v[24:25], s[44:45], v[195:196]
	v_add_f64_e32 v[4:5], v[6:7], v[4:5]
	s_delay_alu instid0(VALU_DEP_2) | instskip(SKIP_1) | instid1(VALU_DEP_2)
	v_fma_f64 v[26:27], v[191:192], s[42:43], v[24:25]
	v_fma_f64 v[6:7], v[191:192], s[42:43], -v[24:25]
	v_add_f64_e32 v[2:3], v[26:27], v[2:3]
	v_mul_f64_e32 v[26:27], s[42:43], v[201:202]
	s_delay_alu instid0(VALU_DEP_3) | instskip(SKIP_1) | instid1(VALU_DEP_2)
	v_add_f64_e32 v[0:1], v[6:7], v[0:1]
	s_wait_alu 0xfffe
	v_fma_f64 v[28:29], v[213:214], s[50:51], v[26:27]
	v_fma_f64 v[6:7], v[213:214], s[44:45], v[26:27]
	s_delay_alu instid0(VALU_DEP_2) | instskip(SKIP_1) | instid1(VALU_DEP_3)
	v_add_f64_e32 v[8:9], v[28:29], v[8:9]
	v_mul_f64_e32 v[28:29], s[46:47], v[211:212]
	v_add_f64_e32 v[4:5], v[6:7], v[4:5]
	s_delay_alu instid0(VALU_DEP_2) | instskip(SKIP_1) | instid1(VALU_DEP_2)
	v_fma_f64 v[30:31], v[203:204], s[10:11], v[28:29]
	v_fma_f64 v[6:7], v[203:204], s[10:11], -v[28:29]
	v_add_f64_e32 v[2:3], v[30:31], v[2:3]
	v_mul_f64_e32 v[30:31], s[10:11], v[207:208]
	s_delay_alu instid0(VALU_DEP_3) | instskip(NEXT) | instid1(VALU_DEP_2)
	v_add_f64_e32 v[0:1], v[6:7], v[0:1]
	v_fma_f64 v[32:33], v[221:222], s[16:17], v[30:31]
	v_fma_f64 v[6:7], v[221:222], s[46:47], v[30:31]
	s_delay_alu instid0(VALU_DEP_2) | instskip(SKIP_1) | instid1(VALU_DEP_3)
	v_add_f64_e32 v[8:9], v[32:33], v[8:9]
	v_mul_f64_e32 v[32:33], s[52:53], v[219:220]
	v_add_f64_e32 v[4:5], v[6:7], v[4:5]
	s_delay_alu instid0(VALU_DEP_2) | instskip(SKIP_1) | instid1(VALU_DEP_2)
	v_fma_f64 v[34:35], v[209:210], s[26:27], v[32:33]
	v_fma_f64 v[6:7], v[209:210], s[26:27], -v[32:33]
	v_add_f64_e32 v[152:153], v[34:35], v[2:3]
	v_mul_f64_e32 v[2:3], s[26:27], v[215:216]
	s_delay_alu instid0(VALU_DEP_3) | instskip(NEXT) | instid1(VALU_DEP_2)
	v_add_f64_e32 v[156:157], v[6:7], v[0:1]
	v_fma_f64 v[34:35], v[223:224], s[30:31], v[2:3]
	v_fma_f64 v[2:3], v[223:224], s[52:53], v[2:3]
	s_delay_alu instid0(VALU_DEP_2) | instskip(NEXT) | instid1(VALU_DEP_2)
	v_add_f64_e32 v[154:155], v[34:35], v[8:9]
	v_add_f64_e32 v[158:159], v[2:3], v[4:5]
	s_and_saveexec_b32 s1, vcc_lo
	s_cbranch_execz .LBB0_17
; %bb.16:
	v_add_f64_e32 v[2:3], v[100:101], v[132:133]
	v_add_f64_e32 v[0:1], v[102:103], v[134:135]
	scratch_load_b64 v[10:11], off, off offset:232 th:TH_LOAD_LU ; 8-byte Folded Reload
	v_mul_f64_e32 v[16:17], s[50:51], v[235:236]
	v_mul_f64_e32 v[18:19], s[38:39], v[235:236]
	;; [unrolled: 1-line block ×8, first 2 shown]
	v_add_f64_e32 v[2:3], v[108:109], v[2:3]
	v_add_f64_e32 v[0:1], v[110:111], v[0:1]
	v_fma_f64 v[26:27], v[233:234], s[42:43], v[16:17]
	v_fma_f64 v[16:17], v[233:234], s[42:43], -v[16:17]
	v_fma_f64 v[28:29], v[233:234], s[34:35], v[18:19]
	v_fma_f64 v[18:19], v[233:234], s[34:35], -v[18:19]
	v_add_f64_e32 v[6:7], v[6:7], v[205:206]
	v_fma_f64 v[108:109], v[193:194], s[26:27], -v[34:35]
	v_fma_f64 v[34:35], v[193:194], s[26:27], v[34:35]
	v_fma_f64 v[24:25], v[233:234], s[26:27], v[14:15]
	v_fma_f64 v[14:15], v[233:234], s[26:27], -v[14:15]
	v_fma_f64 v[30:31], v[233:234], s[18:19], v[20:21]
	v_fma_f64 v[20:21], v[233:234], s[18:19], -v[20:21]
	v_add_f64_e32 v[2:3], v[112:113], v[2:3]
	v_add_f64_e32 v[0:1], v[114:115], v[0:1]
	;; [unrolled: 1-line block ×13, first 2 shown]
	v_mul_f64_e32 v[14:15], s[48:49], v[221:222]
	s_delay_alu instid0(VALU_DEP_4) | instskip(NEXT) | instid1(VALU_DEP_4)
	v_add_f64_e32 v[2:3], v[120:121], v[2:3]
	v_add_f64_e32 v[0:1], v[122:123], v[0:1]
	v_add_f64_e32 v[120:121], v[102:103], v[16:17]
	scratch_load_b64 v[16:17], off, off offset:408 th:TH_LOAD_LU ; 8-byte Folded Reload
	v_add_f64_e32 v[2:3], v[124:125], v[2:3]
	v_add_f64_e32 v[0:1], v[126:127], v[0:1]
	;; [unrolled: 1-line block ×3, first 2 shown]
	scratch_load_b64 v[18:19], off, off offset:400 th:TH_LOAD_LU ; 8-byte Folded Reload
	v_add_f64_e32 v[2:3], v[128:129], v[2:3]
	v_add_f64_e32 v[0:1], v[130:131], v[0:1]
	s_delay_alu instid0(VALU_DEP_2) | instskip(NEXT) | instid1(VALU_DEP_2)
	v_add_f64_e32 v[2:3], v[140:141], v[2:3]
	v_add_f64_e32 v[0:1], v[142:143], v[0:1]
	v_mul_f64_e32 v[140:141], s[8:9], v[219:220]
	v_mul_f64_e32 v[142:143], s[40:41], v[219:220]
	s_delay_alu instid0(VALU_DEP_4) | instskip(NEXT) | instid1(VALU_DEP_4)
	v_add_f64_e32 v[2:3], v[136:137], v[2:3]
	v_add_f64_e32 v[0:1], v[138:139], v[0:1]
	v_mul_f64_e32 v[138:139], s[8:9], v[223:224]
	s_delay_alu instid0(VALU_DEP_3) | instskip(SKIP_1) | instid1(VALU_DEP_4)
	v_add_f64_e32 v[2:3], v[104:105], v[2:3]
	v_mul_f64_e32 v[104:105], s[28:29], v[199:200]
	v_add_f64_e32 v[0:1], v[106:107], v[0:1]
	v_fma_f64 v[106:107], v[193:194], s[10:11], -v[32:33]
	v_fma_f64 v[32:33], v[193:194], s[10:11], v[32:33]
	v_add_f64_e32 v[2:3], v[96:97], v[2:3]
	v_fma_f64 v[114:115], v[193:194], s[18:19], -v[104:105]
	v_fma_f64 v[104:105], v[193:194], s[18:19], v[104:105]
	v_add_f64_e32 v[0:1], v[98:99], v[0:1]
	v_mul_f64_e32 v[96:97], s[50:51], v[199:200]
	v_mul_f64_e32 v[98:99], s[38:39], v[199:200]
	v_add_f64_e32 v[106:107], v[100:101], v[106:107]
	v_add_f64_e32 v[32:33], v[100:101], v[32:33]
	;; [unrolled: 1-line block ×5, first 2 shown]
	s_clause 0x2
	scratch_load_b64 v[104:105], off, off offset:312 th:TH_LOAD_LU
	scratch_load_b64 v[114:115], off, off offset:320 th:TH_LOAD_LU
	;; [unrolled: 1-line block ×3, first 2 shown]
	v_add_f64_e32 v[0:1], v[251:252], v[0:1]
	v_fma_f64 v[110:111], v[193:194], s[42:43], -v[96:97]
	v_fma_f64 v[96:97], v[193:194], s[42:43], v[96:97]
	s_wait_loadcnt 0x5
	v_add_f64_e64 v[8:9], v[10:11], -v[8:9]
	v_mul_f64_e32 v[10:11], s[2:3], v[193:194]
	v_fma_f64 v[112:113], v[193:194], s[34:35], -v[98:99]
	v_fma_f64 v[98:99], v[193:194], s[34:35], v[98:99]
	v_add_f64_e32 v[2:3], v[245:246], v[2:3]
	v_add_f64_e32 v[0:1], v[247:248], v[0:1]
	;; [unrolled: 1-line block ×4, first 2 shown]
	scratch_load_b64 v[96:97], off, off offset:392 th:TH_LOAD_LU ; 8-byte Folded Reload
	v_add_f64_e32 v[8:9], v[102:103], v[8:9]
	v_add_f64_e32 v[112:113], v[100:101], v[112:113]
	;; [unrolled: 1-line block ×3, first 2 shown]
	scratch_load_b64 v[98:99], off, off offset:384 th:TH_LOAD_LU ; 8-byte Folded Reload
	s_wait_loadcnt 0x6
	v_add_f64_e64 v[14:15], v[16:17], -v[14:15]
	v_mul_f64_e32 v[16:17], s[40:41], v[213:214]
	v_add_f64_e32 v[2:3], v[241:242], v[2:3]
	v_add_f64_e32 v[0:1], v[243:244], v[0:1]
	s_wait_loadcnt 0x5
	s_delay_alu instid0(VALU_DEP_3) | instskip(SKIP_1) | instid1(VALU_DEP_4)
	v_add_f64_e64 v[16:17], v[18:19], -v[16:17]
	v_mul_f64_e32 v[18:19], s[28:29], v[197:198]
	v_add_f64_e32 v[4:5], v[237:238], v[2:3]
	s_delay_alu instid0(VALU_DEP_4) | instskip(NEXT) | instid1(VALU_DEP_1)
	v_add_f64_e32 v[0:1], v[239:240], v[0:1]
	v_add_f64_e32 v[2:3], v[231:232], v[0:1]
	s_delay_alu instid0(VALU_DEP_3) | instskip(SKIP_1) | instid1(VALU_DEP_1)
	v_add_f64_e32 v[0:1], v[229:230], v[4:5]
	v_mul_f64_e32 v[4:5], s[24:25], v[235:236]
	v_add_f64_e64 v[4:5], v[217:218], -v[4:5]
	s_delay_alu instid0(VALU_DEP_1) | instskip(SKIP_3) | instid1(VALU_DEP_2)
	v_add_f64_e32 v[4:5], v[102:103], v[4:5]
	s_wait_loadcnt 0x2
	v_add_f64_e32 v[10:11], v[10:11], v[12:13]
	v_mul_f64_e32 v[12:13], s[46:47], v[235:236]
	v_add_f64_e32 v[10:11], v[100:101], v[10:11]
	scratch_load_b64 v[100:101], off, off offset:360 th:TH_LOAD_LU ; 8-byte Folded Reload
	v_fma_f64 v[22:23], v[233:234], s[10:11], v[12:13]
	v_fma_f64 v[12:13], v[233:234], s[10:11], -v[12:13]
	s_wait_loadcnt 0x2
	v_add_f64_e64 v[18:19], v[96:97], -v[18:19]
	v_mul_f64_e32 v[96:97], s[58:59], v[187:188]
	s_delay_alu instid0(VALU_DEP_4) | instskip(NEXT) | instid1(VALU_DEP_4)
	v_add_f64_e32 v[22:23], v[102:103], v[22:23]
	v_add_f64_e32 v[116:117], v[102:103], v[12:13]
	scratch_load_b64 v[102:103], off, off offset:328 th:TH_LOAD_LU ; 8-byte Folded Reload
	s_wait_loadcnt 0x2
	v_add_f64_e64 v[96:97], v[98:99], -v[96:97]
	v_mul_f64_e32 v[98:99], s[30:31], v[179:180]
	v_mul_f64_e32 v[12:13], s[46:47], v[223:224]
	s_delay_alu instid0(VALU_DEP_1) | instskip(SKIP_1) | instid1(VALU_DEP_3)
	v_add_f64_e64 v[12:13], v[253:254], -v[12:13]
	s_wait_loadcnt 0x1
	v_add_f64_e64 v[98:99], v[100:101], -v[98:99]
	v_mul_f64_e32 v[100:101], s[44:45], v[171:172]
	s_wait_loadcnt 0x0
	s_delay_alu instid0(VALU_DEP_1) | instskip(SKIP_1) | instid1(VALU_DEP_2)
	v_add_f64_e64 v[100:101], v[102:103], -v[100:101]
	v_mul_f64_e32 v[102:103], s[42:43], v[161:162]
	v_add_f64_e32 v[4:5], v[100:101], v[4:5]
	s_delay_alu instid0(VALU_DEP_2) | instskip(SKIP_2) | instid1(VALU_DEP_4)
	v_add_f64_e32 v[102:103], v[102:103], v[104:105]
	v_mul_f64_e32 v[104:105], s[26:27], v[167:168]
	v_mul_f64_e32 v[100:101], s[2:3], v[175:176]
	v_add_f64_e32 v[4:5], v[98:99], v[4:5]
	s_delay_alu instid0(VALU_DEP_4)
	v_add_f64_e32 v[6:7], v[102:103], v[6:7]
	scratch_load_b64 v[102:103], off, off offset:336 th:TH_LOAD_LU ; 8-byte Folded Reload
	v_add_f64_e32 v[104:105], v[104:105], v[114:115]
	v_mul_f64_e32 v[98:99], s[18:19], v[183:184]
	scratch_load_b64 v[114:115], off, off offset:208 th:TH_LOAD_LU ; 8-byte Folded Reload
	v_add_f64_e32 v[4:5], v[96:97], v[4:5]
	v_mul_f64_e32 v[96:97], s[36:37], v[191:192]
	v_add_f64_e32 v[6:7], v[104:105], v[6:7]
	scratch_load_b64 v[104:105], off, off offset:192 th:TH_LOAD_LU ; 8-byte Folded Reload
	v_add_f64_e32 v[4:5], v[18:19], v[4:5]
	v_mul_f64_e32 v[18:19], s[34:35], v[203:204]
	s_delay_alu instid0(VALU_DEP_2) | instskip(SKIP_1) | instid1(VALU_DEP_2)
	v_add_f64_e32 v[4:5], v[16:17], v[4:5]
	v_mul_f64_e32 v[16:17], s[10:11], v[209:210]
	v_add_f64_e32 v[4:5], v[14:15], v[4:5]
	s_wait_loadcnt 0x2
	v_add_f64_e32 v[100:101], v[100:101], v[102:103]
	scratch_load_b64 v[102:103], off, off offset:344 th:TH_LOAD_LU ; 8-byte Folded Reload
	v_add_f64_e32 v[6:7], v[100:101], v[6:7]
	scratch_load_b64 v[100:101], off, off offset:352 th:TH_LOAD_LU ; 8-byte Folded Reload
	s_wait_loadcnt 0x1
	v_add_f64_e32 v[98:99], v[98:99], v[102:103]
	scratch_load_b64 v[102:103], off, off offset:200 th:TH_LOAD_LU ; 8-byte Folded Reload
	s_wait_loadcnt 0x1
	v_add_f64_e32 v[96:97], v[96:97], v[100:101]
	v_add_f64_e32 v[6:7], v[98:99], v[6:7]
	s_clause 0x1
	scratch_load_b64 v[98:99], off, off offset:368 th:TH_LOAD_LU
	scratch_load_b64 v[100:101], off, off offset:224 th:TH_LOAD_LU
	v_add_f64_e32 v[6:7], v[96:97], v[6:7]
	scratch_load_b64 v[96:97], off, off offset:376 th:TH_LOAD_LU ; 8-byte Folded Reload
	s_wait_loadcnt 0x2
	v_add_f64_e32 v[18:19], v[18:19], v[98:99]
	scratch_load_b64 v[98:99], off, off offset:248 th:TH_LOAD_LU ; 8-byte Folded Reload
	s_wait_loadcnt 0x1
	v_add_f64_e32 v[16:17], v[16:17], v[96:97]
	v_add_f64_e32 v[14:15], v[18:19], v[6:7]
	;; [unrolled: 1-line block ×3, first 2 shown]
	s_clause 0x1
	scratch_load_b64 v[18:19], off, off offset:280 th:TH_LOAD_LU
	scratch_load_b64 v[96:97], off, off offset:264 th:TH_LOAD_LU
	v_mul_f64_e32 v[12:13], s[44:45], v[223:224]
	v_add_f64_e32 v[4:5], v[16:17], v[14:15]
	s_clause 0x1
	scratch_load_b64 v[14:15], off, off offset:304 th:TH_LOAD_LU
	scratch_load_b64 v[16:17], off, off offset:296 th:TH_LOAD_LU
	s_wait_loadcnt 0x1
	v_add_f64_e64 v[12:13], v[14:15], -v[12:13]
	v_mul_f64_e32 v[14:15], s[40:41], v[221:222]
	s_wait_loadcnt 0x0
	s_delay_alu instid0(VALU_DEP_1) | instskip(SKIP_1) | instid1(VALU_DEP_1)
	v_add_f64_e64 v[14:15], v[16:17], -v[14:15]
	v_mul_f64_e32 v[16:17], s[38:39], v[213:214]
	v_add_f64_e64 v[16:17], v[18:19], -v[16:17]
	v_mul_f64_e32 v[18:19], s[52:53], v[197:198]
	s_delay_alu instid0(VALU_DEP_1) | instskip(SKIP_1) | instid1(VALU_DEP_1)
	v_add_f64_e64 v[18:19], v[96:97], -v[18:19]
	v_mul_f64_e32 v[96:97], s[24:25], v[187:188]
	v_add_f64_e64 v[96:97], v[98:99], -v[96:97]
	v_mul_f64_e32 v[98:99], s[28:29], v[179:180]
	s_delay_alu instid0(VALU_DEP_1) | instskip(SKIP_1) | instid1(VALU_DEP_1)
	v_add_f64_e64 v[98:99], v[100:101], -v[98:99]
	v_mul_f64_e32 v[100:101], s[16:17], v[171:172]
	v_add_f64_e64 v[100:101], v[102:103], -v[100:101]
	v_mul_f64_e32 v[102:103], s[10:11], v[161:162]
	s_delay_alu instid0(VALU_DEP_2) | instskip(NEXT) | instid1(VALU_DEP_2)
	v_add_f64_e32 v[8:9], v[100:101], v[8:9]
	v_add_f64_e32 v[102:103], v[102:103], v[104:105]
	v_mul_f64_e32 v[104:105], s[18:19], v[167:168]
	v_mul_f64_e32 v[100:101], s[20:21], v[175:176]
	s_delay_alu instid0(VALU_DEP_4) | instskip(NEXT) | instid1(VALU_DEP_4)
	v_add_f64_e32 v[8:9], v[98:99], v[8:9]
	v_add_f64_e32 v[10:11], v[102:103], v[10:11]
	scratch_load_b64 v[102:103], off, off offset:216 th:TH_LOAD_LU ; 8-byte Folded Reload
	v_add_f64_e32 v[104:105], v[104:105], v[114:115]
	v_mul_f64_e32 v[98:99], s[26:27], v[183:184]
	v_add_f64_e32 v[8:9], v[96:97], v[8:9]
	v_mul_f64_e32 v[96:97], s[34:35], v[191:192]
	s_delay_alu instid0(VALU_DEP_4) | instskip(NEXT) | instid1(VALU_DEP_3)
	v_add_f64_e32 v[10:11], v[104:105], v[10:11]
	v_add_f64_e32 v[8:9], v[18:19], v[8:9]
	v_mul_f64_e32 v[18:19], s[36:37], v[203:204]
	s_delay_alu instid0(VALU_DEP_2) | instskip(SKIP_1) | instid1(VALU_DEP_2)
	v_add_f64_e32 v[8:9], v[16:17], v[8:9]
	v_mul_f64_e32 v[16:17], s[42:43], v[209:210]
	v_add_f64_e32 v[8:9], v[14:15], v[8:9]
	s_wait_loadcnt 0x0
	v_add_f64_e32 v[100:101], v[100:101], v[102:103]
	scratch_load_b64 v[102:103], off, off offset:240 th:TH_LOAD_LU ; 8-byte Folded Reload
	v_add_f64_e32 v[10:11], v[100:101], v[10:11]
	scratch_load_b64 v[100:101], off, off offset:256 th:TH_LOAD_LU ; 8-byte Folded Reload
	s_wait_loadcnt 0x1
	v_add_f64_e32 v[98:99], v[98:99], v[102:103]
	s_wait_loadcnt 0x0
	v_add_f64_e32 v[96:97], v[96:97], v[100:101]
	s_delay_alu instid0(VALU_DEP_2)
	v_add_f64_e32 v[10:11], v[98:99], v[10:11]
	scratch_load_b64 v[98:99], off, off offset:272 th:TH_LOAD_LU ; 8-byte Folded Reload
	v_add_f64_e32 v[10:11], v[96:97], v[10:11]
	scratch_load_b64 v[96:97], off, off offset:288 th:TH_LOAD_LU ; 8-byte Folded Reload
	s_wait_loadcnt 0x1
	v_add_f64_e32 v[18:19], v[18:19], v[98:99]
	s_wait_loadcnt 0x0
	v_add_f64_e32 v[16:17], v[16:17], v[96:97]
	s_delay_alu instid0(VALU_DEP_2) | instskip(SKIP_2) | instid1(VALU_DEP_3)
	v_add_f64_e32 v[14:15], v[18:19], v[10:11]
	v_add_f64_e32 v[10:11], v[12:13], v[8:9]
	v_mul_f64_e32 v[18:19], s[54:55], v[163:164]
	v_add_f64_e32 v[8:9], v[16:17], v[14:15]
	v_mul_f64_e32 v[16:17], s[54:55], v[171:172]
	s_delay_alu instid0(VALU_DEP_3) | instskip(SKIP_1) | instid1(VALU_DEP_3)
	v_fma_f64 v[14:15], v[161:162], s[20:21], -v[18:19]
	v_fma_f64 v[18:19], v[161:162], s[20:21], v[18:19]
	v_fma_f64 v[12:13], v[165:166], s[20:21], v[16:17]
	s_delay_alu instid0(VALU_DEP_3) | instskip(SKIP_1) | instid1(VALU_DEP_4)
	v_add_f64_e32 v[14:15], v[14:15], v[106:107]
	v_fma_f64 v[16:17], v[165:166], s[20:21], -v[16:17]
	v_add_f64_e32 v[18:19], v[18:19], v[32:33]
	v_fma_f64 v[32:33], v[209:210], s[2:3], v[140:141]
	v_add_f64_e32 v[12:13], v[12:13], v[22:23]
	v_mul_f64_e32 v[22:23], s[48:49], v[179:180]
	v_add_f64_e32 v[16:17], v[16:17], v[116:117]
	v_mul_f64_e32 v[116:117], s[24:25], v[213:214]
	s_delay_alu instid0(VALU_DEP_3) | instskip(SKIP_1) | instid1(VALU_DEP_2)
	v_fma_f64 v[96:97], v[173:174], s[34:35], v[22:23]
	v_fma_f64 v[22:23], v[173:174], s[34:35], -v[22:23]
	v_add_f64_e32 v[12:13], v[96:97], v[12:13]
	v_mul_f64_e32 v[96:97], s[48:49], v[169:170]
	s_delay_alu instid0(VALU_DEP_3) | instskip(NEXT) | instid1(VALU_DEP_2)
	v_add_f64_e32 v[16:17], v[22:23], v[16:17]
	v_fma_f64 v[98:99], v[167:168], s[34:35], -v[96:97]
	v_fma_f64 v[22:23], v[167:168], s[34:35], v[96:97]
	s_delay_alu instid0(VALU_DEP_2) | instskip(SKIP_1) | instid1(VALU_DEP_3)
	v_add_f64_e32 v[14:15], v[98:99], v[14:15]
	v_mul_f64_e32 v[98:99], s[50:51], v[187:188]
	v_add_f64_e32 v[18:19], v[22:23], v[18:19]
	s_delay_alu instid0(VALU_DEP_2) | instskip(SKIP_1) | instid1(VALU_DEP_2)
	v_fma_f64 v[100:101], v[181:182], s[42:43], v[98:99]
	v_fma_f64 v[22:23], v[181:182], s[42:43], -v[98:99]
	v_add_f64_e32 v[12:13], v[100:101], v[12:13]
	v_mul_f64_e32 v[100:101], s[50:51], v[177:178]
	s_delay_alu instid0(VALU_DEP_3) | instskip(NEXT) | instid1(VALU_DEP_2)
	v_add_f64_e32 v[16:17], v[22:23], v[16:17]
	v_fma_f64 v[102:103], v[175:176], s[42:43], -v[100:101]
	v_fma_f64 v[22:23], v[175:176], s[42:43], v[100:101]
	v_mul_f64_e32 v[100:101], s[16:17], v[179:180]
	s_delay_alu instid0(VALU_DEP_3) | instskip(SKIP_1) | instid1(VALU_DEP_4)
	v_add_f64_e32 v[14:15], v[102:103], v[14:15]
	v_mul_f64_e32 v[102:103], s[40:41], v[197:198]
	v_add_f64_e32 v[18:19], v[22:23], v[18:19]
	s_delay_alu instid0(VALU_DEP_4) | instskip(NEXT) | instid1(VALU_DEP_3)
	v_fma_f64 v[98:99], v[173:174], s[10:11], v[100:101]
	v_fma_f64 v[104:105], v[189:190], s[36:37], v[102:103]
	v_fma_f64 v[22:23], v[189:190], s[36:37], -v[102:103]
	v_mul_f64_e32 v[102:103], s[16:17], v[169:170]
	s_delay_alu instid0(VALU_DEP_3) | instskip(SKIP_1) | instid1(VALU_DEP_4)
	v_add_f64_e32 v[12:13], v[104:105], v[12:13]
	v_mul_f64_e32 v[104:105], s[40:41], v[185:186]
	v_add_f64_e32 v[16:17], v[22:23], v[16:17]
	s_delay_alu instid0(VALU_DEP_2) | instskip(SKIP_2) | instid1(VALU_DEP_3)
	v_fma_f64 v[106:107], v[183:184], s[36:37], -v[104:105]
	v_fma_f64 v[22:23], v[183:184], s[36:37], v[104:105]
	v_mul_f64_e32 v[104:105], s[22:23], v[187:188]
	v_add_f64_e32 v[14:15], v[106:107], v[14:15]
	v_mul_f64_e32 v[106:107], s[52:53], v[213:214]
	s_delay_alu instid0(VALU_DEP_4) | instskip(NEXT) | instid1(VALU_DEP_2)
	v_add_f64_e32 v[18:19], v[22:23], v[18:19]
	v_fma_f64 v[114:115], v[201:202], s[26:27], v[106:107]
	v_fma_f64 v[22:23], v[201:202], s[26:27], -v[106:107]
	v_mul_f64_e32 v[106:107], s[22:23], v[177:178]
	s_delay_alu instid0(VALU_DEP_3) | instskip(SKIP_1) | instid1(VALU_DEP_4)
	v_add_f64_e32 v[12:13], v[114:115], v[12:13]
	v_mul_f64_e32 v[114:115], s[52:53], v[195:196]
	v_add_f64_e32 v[16:17], v[22:23], v[16:17]
	s_delay_alu instid0(VALU_DEP_2) | instskip(SKIP_2) | instid1(VALU_DEP_3)
	v_fma_f64 v[132:133], v[191:192], s[26:27], -v[114:115]
	v_fma_f64 v[22:23], v[191:192], s[26:27], v[114:115]
	v_mul_f64_e32 v[114:115], s[50:51], v[185:186]
	v_add_f64_e32 v[14:15], v[132:133], v[14:15]
	v_mul_f64_e32 v[132:133], s[28:29], v[221:222]
	s_delay_alu instid0(VALU_DEP_4) | instskip(NEXT) | instid1(VALU_DEP_2)
	v_add_f64_e32 v[18:19], v[22:23], v[18:19]
	v_fma_f64 v[134:135], v[207:208], s[18:19], v[132:133]
	v_fma_f64 v[22:23], v[207:208], s[18:19], -v[132:133]
	v_mul_f64_e32 v[132:133], s[24:25], v[195:196]
	s_delay_alu instid0(VALU_DEP_3) | instskip(SKIP_1) | instid1(VALU_DEP_4)
	v_add_f64_e32 v[12:13], v[134:135], v[12:13]
	v_mul_f64_e32 v[134:135], s[28:29], v[211:212]
	v_add_f64_e32 v[16:17], v[22:23], v[16:17]
	s_delay_alu instid0(VALU_DEP_2) | instskip(SKIP_2) | instid1(VALU_DEP_3)
	v_fma_f64 v[22:23], v[203:204], s[18:19], v[134:135]
	v_fma_f64 v[136:137], v[203:204], s[18:19], -v[134:135]
	v_mul_f64_e32 v[134:135], s[58:59], v[221:222]
	v_add_f64_e32 v[22:23], v[22:23], v[18:19]
	v_fma_f64 v[18:19], v[215:216], s[2:3], -v[138:139]
	s_delay_alu instid0(VALU_DEP_4) | instskip(SKIP_2) | instid1(VALU_DEP_4)
	v_add_f64_e32 v[136:137], v[136:137], v[14:15]
	v_fma_f64 v[14:15], v[215:216], s[2:3], v[138:139]
	v_mul_f64_e32 v[138:139], s[48:49], v[223:224]
	v_add_f64_e32 v[18:19], v[18:19], v[16:17]
	v_add_f64_e32 v[16:17], v[32:33], v[22:23]
	v_mul_f64_e32 v[22:23], s[40:41], v[171:172]
	v_add_f64_e32 v[14:15], v[14:15], v[12:13]
	v_fma_f64 v[12:13], v[209:210], s[2:3], -v[140:141]
	s_delay_alu instid0(VALU_DEP_3) | instskip(SKIP_1) | instid1(VALU_DEP_3)
	v_fma_f64 v[32:33], v[165:166], s[36:37], v[22:23]
	v_fma_f64 v[22:23], v[165:166], s[36:37], -v[22:23]
	v_add_f64_e32 v[12:13], v[12:13], v[136:137]
	v_mul_f64_e32 v[136:137], s[58:59], v[211:212]
	s_delay_alu instid0(VALU_DEP_4) | instskip(SKIP_3) | instid1(VALU_DEP_4)
	v_add_f64_e32 v[24:25], v[32:33], v[24:25]
	v_mul_f64_e32 v[32:33], s[40:41], v[163:164]
	v_add_f64_e32 v[22:23], v[22:23], v[118:119]
	v_mul_f64_e32 v[118:119], s[48:49], v[185:186]
	v_add_f64_e32 v[24:25], v[98:99], v[24:25]
	s_delay_alu instid0(VALU_DEP_4) | instskip(SKIP_2) | instid1(VALU_DEP_3)
	v_fma_f64 v[96:97], v[161:162], s[36:37], -v[32:33]
	v_fma_f64 v[32:33], v[161:162], s[36:37], v[32:33]
	v_fma_f64 v[98:99], v[167:168], s[10:11], -v[102:103]
	v_add_f64_e32 v[96:97], v[96:97], v[108:109]
	s_delay_alu instid0(VALU_DEP_3) | instskip(SKIP_2) | instid1(VALU_DEP_4)
	v_add_f64_e32 v[32:33], v[32:33], v[34:35]
	v_fma_f64 v[34:35], v[173:174], s[10:11], -v[100:101]
	v_mul_f64_e32 v[108:109], s[50:51], v[197:198]
	v_add_f64_e32 v[96:97], v[98:99], v[96:97]
	v_fma_f64 v[98:99], v[181:182], s[18:19], v[104:105]
	s_delay_alu instid0(VALU_DEP_4) | instskip(SKIP_1) | instid1(VALU_DEP_3)
	v_add_f64_e32 v[22:23], v[34:35], v[22:23]
	v_fma_f64 v[34:35], v[167:168], s[10:11], v[102:103]
	v_add_f64_e32 v[24:25], v[98:99], v[24:25]
	v_fma_f64 v[98:99], v[175:176], s[18:19], -v[106:107]
	s_delay_alu instid0(VALU_DEP_3) | instskip(SKIP_1) | instid1(VALU_DEP_3)
	v_add_f64_e32 v[32:33], v[34:35], v[32:33]
	v_fma_f64 v[34:35], v[181:182], s[18:19], -v[104:105]
	v_add_f64_e32 v[96:97], v[98:99], v[96:97]
	v_fma_f64 v[98:99], v[189:190], s[42:43], v[108:109]
	s_delay_alu instid0(VALU_DEP_3) | instskip(SKIP_1) | instid1(VALU_DEP_3)
	v_add_f64_e32 v[22:23], v[34:35], v[22:23]
	v_fma_f64 v[34:35], v[175:176], s[18:19], v[106:107]
	v_add_f64_e32 v[24:25], v[98:99], v[24:25]
	v_fma_f64 v[98:99], v[183:184], s[42:43], -v[114:115]
	s_delay_alu instid0(VALU_DEP_3) | instskip(SKIP_2) | instid1(VALU_DEP_4)
	v_add_f64_e32 v[32:33], v[34:35], v[32:33]
	v_fma_f64 v[34:35], v[189:190], s[42:43], -v[108:109]
	v_mul_f64_e32 v[108:109], s[56:57], v[169:170]
	v_add_f64_e32 v[96:97], v[98:99], v[96:97]
	v_fma_f64 v[98:99], v[201:202], s[20:21], v[116:117]
	s_delay_alu instid0(VALU_DEP_4) | instskip(SKIP_2) | instid1(VALU_DEP_4)
	v_add_f64_e32 v[22:23], v[34:35], v[22:23]
	v_fma_f64 v[34:35], v[183:184], s[42:43], v[114:115]
	v_mul_f64_e32 v[114:115], s[16:17], v[177:178]
	v_add_f64_e32 v[24:25], v[98:99], v[24:25]
	v_fma_f64 v[98:99], v[191:192], s[20:21], -v[132:133]
	s_delay_alu instid0(VALU_DEP_4) | instskip(SKIP_2) | instid1(VALU_DEP_4)
	v_add_f64_e32 v[32:33], v[34:35], v[32:33]
	v_fma_f64 v[34:35], v[201:202], s[20:21], -v[116:117]
	v_mul_f64_e32 v[116:117], s[48:49], v[197:198]
	v_add_f64_e32 v[96:97], v[98:99], v[96:97]
	v_fma_f64 v[98:99], v[207:208], s[2:3], v[134:135]
	s_delay_alu instid0(VALU_DEP_4) | instskip(SKIP_2) | instid1(VALU_DEP_4)
	v_add_f64_e32 v[22:23], v[34:35], v[22:23]
	v_fma_f64 v[34:35], v[191:192], s[20:21], v[132:133]
	v_mul_f64_e32 v[132:133], s[28:29], v[213:214]
	v_add_f64_e32 v[24:25], v[98:99], v[24:25]
	v_fma_f64 v[98:99], v[203:204], s[2:3], -v[136:137]
	s_delay_alu instid0(VALU_DEP_4) | instskip(SKIP_2) | instid1(VALU_DEP_4)
	v_add_f64_e32 v[32:33], v[34:35], v[32:33]
	v_fma_f64 v[34:35], v[207:208], s[2:3], -v[134:135]
	v_mul_f64_e32 v[134:135], s[28:29], v[195:196]
	v_add_f64_e32 v[96:97], v[98:99], v[96:97]
	v_fma_f64 v[98:99], v[215:216], s[34:35], v[138:139]
	s_delay_alu instid0(VALU_DEP_4) | instskip(SKIP_2) | instid1(VALU_DEP_4)
	v_add_f64_e32 v[22:23], v[34:35], v[22:23]
	v_fma_f64 v[34:35], v[203:204], s[2:3], v[136:137]
	v_mul_f64_e32 v[136:137], s[30:31], v[221:222]
	v_add_f64_e32 v[98:99], v[98:99], v[24:25]
	v_mul_f64_e32 v[24:25], s[48:49], v[219:220]
	s_delay_alu instid0(VALU_DEP_4) | instskip(SKIP_2) | instid1(VALU_DEP_4)
	v_add_f64_e32 v[32:33], v[34:35], v[32:33]
	v_fma_f64 v[34:35], v[215:216], s[34:35], -v[138:139]
	v_mul_f64_e32 v[138:139], s[30:31], v[211:212]
	v_fma_f64 v[140:141], v[209:210], s[34:35], -v[24:25]
	v_fma_f64 v[24:25], v[209:210], s[34:35], v[24:25]
	s_delay_alu instid0(VALU_DEP_4)
	v_add_f64_e32 v[102:103], v[34:35], v[22:23]
	v_mul_f64_e32 v[22:23], s[8:9], v[171:172]
	v_mul_f64_e32 v[34:35], s[56:57], v[179:180]
	v_add_f64_e32 v[96:97], v[140:141], v[96:97]
	v_add_f64_e32 v[100:101], v[24:25], v[32:33]
	v_mul_f64_e32 v[140:141], s[24:25], v[223:224]
	v_fma_f64 v[24:25], v[165:166], s[2:3], v[22:23]
	v_fma_f64 v[104:105], v[173:174], s[36:37], v[34:35]
	v_fma_f64 v[22:23], v[165:166], s[2:3], -v[22:23]
	s_delay_alu instid0(VALU_DEP_3) | instskip(SKIP_1) | instid1(VALU_DEP_3)
	v_add_f64_e32 v[24:25], v[24:25], v[26:27]
	v_mul_f64_e32 v[26:27], s[8:9], v[163:164]
	v_add_f64_e32 v[22:23], v[22:23], v[120:121]
	v_mul_f64_e32 v[120:121], s[54:55], v[197:198]
	s_delay_alu instid0(VALU_DEP_4) | instskip(NEXT) | instid1(VALU_DEP_4)
	v_add_f64_e32 v[24:25], v[104:105], v[24:25]
	v_fma_f64 v[32:33], v[161:162], s[2:3], -v[26:27]
	v_fma_f64 v[104:105], v[167:168], s[36:37], -v[108:109]
	v_fma_f64 v[26:27], v[161:162], s[2:3], v[26:27]
	s_delay_alu instid0(VALU_DEP_3) | instskip(SKIP_1) | instid1(VALU_DEP_3)
	v_add_f64_e32 v[32:33], v[32:33], v[110:111]
	v_mul_f64_e32 v[110:111], s[16:17], v[187:188]
	v_add_f64_e32 v[26:27], v[26:27], v[122:123]
	v_mul_f64_e32 v[122:123], s[54:55], v[185:186]
	s_delay_alu instid0(VALU_DEP_4) | instskip(NEXT) | instid1(VALU_DEP_4)
	v_add_f64_e32 v[32:33], v[104:105], v[32:33]
	v_fma_f64 v[104:105], v[181:182], s[10:11], v[110:111]
	s_delay_alu instid0(VALU_DEP_1) | instskip(SKIP_1) | instid1(VALU_DEP_1)
	v_add_f64_e32 v[24:25], v[104:105], v[24:25]
	v_fma_f64 v[104:105], v[175:176], s[10:11], -v[114:115]
	v_add_f64_e32 v[32:33], v[104:105], v[32:33]
	v_fma_f64 v[104:105], v[189:190], s[34:35], v[116:117]
	s_delay_alu instid0(VALU_DEP_1) | instskip(SKIP_1) | instid1(VALU_DEP_1)
	v_add_f64_e32 v[24:25], v[104:105], v[24:25]
	v_fma_f64 v[104:105], v[183:184], s[34:35], -v[118:119]
	;; [unrolled: 5-line block ×4, first 2 shown]
	v_add_f64_e32 v[32:33], v[104:105], v[32:33]
	v_fma_f64 v[104:105], v[215:216], s[20:21], v[140:141]
	s_delay_alu instid0(VALU_DEP_1) | instskip(SKIP_1) | instid1(VALU_DEP_1)
	v_add_f64_e32 v[106:107], v[104:105], v[24:25]
	v_mul_f64_e32 v[24:25], s[24:25], v[219:220]
	v_fma_f64 v[104:105], v[209:210], s[20:21], -v[24:25]
	v_fma_f64 v[24:25], v[209:210], s[20:21], v[24:25]
	s_delay_alu instid0(VALU_DEP_2) | instskip(SKIP_1) | instid1(VALU_DEP_1)
	v_add_f64_e32 v[104:105], v[104:105], v[32:33]
	v_fma_f64 v[32:33], v[173:174], s[36:37], -v[34:35]
	v_add_f64_e32 v[22:23], v[32:33], v[22:23]
	v_fma_f64 v[32:33], v[167:168], s[36:37], v[108:109]
	s_delay_alu instid0(VALU_DEP_1) | instskip(SKIP_1) | instid1(VALU_DEP_1)
	v_add_f64_e32 v[26:27], v[32:33], v[26:27]
	v_fma_f64 v[32:33], v[181:182], s[10:11], -v[110:111]
	v_add_f64_e32 v[22:23], v[32:33], v[22:23]
	v_fma_f64 v[32:33], v[175:176], s[10:11], v[114:115]
	s_delay_alu instid0(VALU_DEP_1) | instskip(SKIP_2) | instid1(VALU_DEP_2)
	v_add_f64_e32 v[26:27], v[32:33], v[26:27]
	v_fma_f64 v[32:33], v[189:190], s[34:35], -v[116:117]
	v_mul_f64_e32 v[116:117], s[40:41], v[187:188]
	v_add_f64_e32 v[22:23], v[32:33], v[22:23]
	v_fma_f64 v[32:33], v[183:184], s[34:35], v[118:119]
	v_mul_f64_e32 v[118:119], s[40:41], v[177:178]
	s_delay_alu instid0(VALU_DEP_2) | instskip(SKIP_2) | instid1(VALU_DEP_2)
	v_add_f64_e32 v[26:27], v[32:33], v[26:27]
	v_fma_f64 v[32:33], v[201:202], s[18:19], -v[132:133]
	v_mul_f64_e32 v[132:133], s[16:17], v[213:214]
	v_add_f64_e32 v[22:23], v[32:33], v[22:23]
	v_fma_f64 v[32:33], v[191:192], s[18:19], v[134:135]
	v_mul_f64_e32 v[134:135], s[16:17], v[195:196]
	s_delay_alu instid0(VALU_DEP_2) | instskip(SKIP_2) | instid1(VALU_DEP_2)
	v_add_f64_e32 v[26:27], v[32:33], v[26:27]
	v_fma_f64 v[32:33], v[207:208], s[26:27], -v[136:137]
	v_mul_f64_e32 v[136:137], s[44:45], v[221:222]
	v_add_f64_e32 v[22:23], v[32:33], v[22:23]
	v_fma_f64 v[32:33], v[203:204], s[26:27], v[138:139]
	v_mul_f64_e32 v[138:139], s[44:45], v[211:212]
	s_delay_alu instid0(VALU_DEP_2) | instskip(SKIP_2) | instid1(VALU_DEP_3)
	v_add_f64_e32 v[26:27], v[32:33], v[26:27]
	v_fma_f64 v[32:33], v[215:216], s[20:21], -v[140:141]
	v_mul_f64_e32 v[140:141], s[22:23], v[223:224]
	v_add_f64_e32 v[108:109], v[24:25], v[26:27]
	s_delay_alu instid0(VALU_DEP_3) | instskip(SKIP_3) | instid1(VALU_DEP_3)
	v_add_f64_e32 v[110:111], v[32:33], v[22:23]
	v_mul_f64_e32 v[22:23], s[30:31], v[171:172]
	v_mul_f64_e32 v[32:33], s[8:9], v[179:180]
	;; [unrolled: 1-line block ×3, first 2 shown]
	v_fma_f64 v[24:25], v[165:166], s[26:27], v[22:23]
	s_delay_alu instid0(VALU_DEP_3) | instskip(SKIP_1) | instid1(VALU_DEP_3)
	v_fma_f64 v[34:35], v[173:174], s[2:3], v[32:33]
	v_fma_f64 v[22:23], v[165:166], s[26:27], -v[22:23]
	v_add_f64_e32 v[24:25], v[24:25], v[28:29]
	v_fma_f64 v[28:29], v[161:162], s[26:27], -v[26:27]
	s_delay_alu instid0(VALU_DEP_3)
	v_add_f64_e32 v[22:23], v[22:23], v[124:125]
	v_fma_f64 v[26:27], v[161:162], s[26:27], v[26:27]
	v_mul_f64_e32 v[124:125], s[30:31], v[177:178]
	v_add_f64_e32 v[24:25], v[34:35], v[24:25]
	v_mul_f64_e32 v[34:35], s[8:9], v[169:170]
	v_add_f64_e32 v[28:29], v[28:29], v[112:113]
	v_add_f64_e32 v[26:27], v[26:27], v[126:127]
	v_mul_f64_e32 v[126:127], s[46:47], v[197:198]
	s_delay_alu instid0(VALU_DEP_4) | instskip(NEXT) | instid1(VALU_DEP_1)
	v_fma_f64 v[112:113], v[167:168], s[2:3], -v[34:35]
	v_add_f64_e32 v[28:29], v[112:113], v[28:29]
	v_fma_f64 v[112:113], v[181:182], s[36:37], v[116:117]
	s_delay_alu instid0(VALU_DEP_1) | instskip(SKIP_1) | instid1(VALU_DEP_1)
	v_add_f64_e32 v[24:25], v[112:113], v[24:25]
	v_fma_f64 v[112:113], v[175:176], s[36:37], -v[118:119]
	v_add_f64_e32 v[28:29], v[112:113], v[28:29]
	v_fma_f64 v[112:113], v[189:190], s[20:21], v[120:121]
	s_delay_alu instid0(VALU_DEP_1) | instskip(SKIP_1) | instid1(VALU_DEP_1)
	v_add_f64_e32 v[24:25], v[112:113], v[24:25]
	;; [unrolled: 5-line block ×5, first 2 shown]
	v_mul_f64_e32 v[24:25], s[22:23], v[219:220]
	v_fma_f64 v[112:113], v[209:210], s[18:19], -v[24:25]
	v_fma_f64 v[24:25], v[209:210], s[18:19], v[24:25]
	s_delay_alu instid0(VALU_DEP_2) | instskip(SKIP_1) | instid1(VALU_DEP_1)
	v_add_f64_e32 v[112:113], v[112:113], v[28:29]
	v_fma_f64 v[28:29], v[173:174], s[2:3], -v[32:33]
	v_add_f64_e32 v[22:23], v[28:29], v[22:23]
	v_fma_f64 v[28:29], v[167:168], s[2:3], v[34:35]
	s_delay_alu instid0(VALU_DEP_1) | instskip(SKIP_1) | instid1(VALU_DEP_1)
	v_add_f64_e32 v[26:27], v[28:29], v[26:27]
	v_fma_f64 v[28:29], v[181:182], s[36:37], -v[116:117]
	v_add_f64_e32 v[22:23], v[28:29], v[22:23]
	v_fma_f64 v[28:29], v[175:176], s[36:37], v[118:119]
	s_delay_alu instid0(VALU_DEP_1) | instskip(SKIP_1) | instid1(VALU_DEP_1)
	v_add_f64_e32 v[26:27], v[28:29], v[26:27]
	v_fma_f64 v[28:29], v[189:190], s[20:21], -v[120:121]
	v_add_f64_e32 v[22:23], v[28:29], v[22:23]
	v_fma_f64 v[28:29], v[183:184], s[20:21], v[122:123]
	s_delay_alu instid0(VALU_DEP_1) | instskip(SKIP_2) | instid1(VALU_DEP_2)
	v_add_f64_e32 v[26:27], v[28:29], v[26:27]
	v_fma_f64 v[28:29], v[201:202], s[10:11], -v[132:133]
	v_mul_f64_e32 v[132:133], s[8:9], v[213:214]
	v_add_f64_e32 v[22:23], v[28:29], v[22:23]
	v_fma_f64 v[28:29], v[191:192], s[10:11], v[134:135]
	v_mul_f64_e32 v[134:135], s[8:9], v[195:196]
	s_delay_alu instid0(VALU_DEP_2) | instskip(SKIP_2) | instid1(VALU_DEP_2)
	v_add_f64_e32 v[26:27], v[28:29], v[26:27]
	v_fma_f64 v[28:29], v[207:208], s[42:43], -v[136:137]
	v_mul_f64_e32 v[136:137], s[24:25], v[221:222]
	v_add_f64_e32 v[22:23], v[28:29], v[22:23]
	v_fma_f64 v[28:29], v[203:204], s[42:43], v[138:139]
	v_mul_f64_e32 v[138:139], s[24:25], v[211:212]
	s_delay_alu instid0(VALU_DEP_2) | instskip(SKIP_2) | instid1(VALU_DEP_3)
	v_add_f64_e32 v[26:27], v[28:29], v[26:27]
	v_fma_f64 v[28:29], v[215:216], s[18:19], -v[140:141]
	v_mul_f64_e32 v[140:141], s[40:41], v[223:224]
	v_add_f64_e32 v[116:117], v[24:25], v[26:27]
	s_delay_alu instid0(VALU_DEP_3) | instskip(SKIP_2) | instid1(VALU_DEP_2)
	v_add_f64_e32 v[118:119], v[28:29], v[22:23]
	v_mul_f64_e32 v[22:23], s[38:39], v[171:172]
	v_mul_f64_e32 v[28:29], s[50:51], v[179:180]
	v_fma_f64 v[24:25], v[165:166], s[34:35], -v[22:23]
	s_delay_alu instid0(VALU_DEP_2) | instskip(NEXT) | instid1(VALU_DEP_2)
	v_fma_f64 v[32:33], v[173:174], s[42:43], -v[28:29]
	v_add_f64_e32 v[20:21], v[24:25], v[20:21]
	v_mul_f64_e32 v[24:25], s[38:39], v[163:164]
	s_delay_alu instid0(VALU_DEP_2) | instskip(NEXT) | instid1(VALU_DEP_2)
	v_add_f64_e32 v[20:21], v[32:33], v[20:21]
	v_fma_f64 v[26:27], v[161:162], s[34:35], v[24:25]
	v_mul_f64_e32 v[32:33], s[50:51], v[169:170]
	s_delay_alu instid0(VALU_DEP_2) | instskip(NEXT) | instid1(VALU_DEP_2)
	v_add_f64_e32 v[26:27], v[26:27], v[130:131]
	v_fma_f64 v[34:35], v[167:168], s[42:43], v[32:33]
	v_mul_f64_e32 v[130:131], s[46:47], v[185:186]
	s_delay_alu instid0(VALU_DEP_2) | instskip(SKIP_1) | instid1(VALU_DEP_1)
	v_add_f64_e32 v[26:27], v[34:35], v[26:27]
	v_mul_f64_e32 v[34:35], s[30:31], v[187:188]
	v_fma_f64 v[120:121], v[181:182], s[26:27], -v[34:35]
	s_delay_alu instid0(VALU_DEP_1) | instskip(SKIP_1) | instid1(VALU_DEP_1)
	v_add_f64_e32 v[20:21], v[120:121], v[20:21]
	v_fma_f64 v[120:121], v[175:176], s[26:27], v[124:125]
	v_add_f64_e32 v[26:27], v[120:121], v[26:27]
	v_fma_f64 v[120:121], v[189:190], s[10:11], -v[126:127]
	s_delay_alu instid0(VALU_DEP_1) | instskip(SKIP_1) | instid1(VALU_DEP_1)
	v_add_f64_e32 v[20:21], v[120:121], v[20:21]
	v_fma_f64 v[120:121], v[183:184], s[10:11], v[130:131]
	v_add_f64_e32 v[26:27], v[120:121], v[26:27]
	;; [unrolled: 5-line block ×5, first 2 shown]
	v_fma_f64 v[20:21], v[165:166], s[34:35], v[22:23]
	v_fma_f64 v[22:23], v[161:162], s[34:35], -v[24:25]
	v_fma_f64 v[24:25], v[173:174], s[42:43], v[28:29]
	v_fma_f64 v[28:29], v[181:182], s[26:27], v[34:35]
	v_fma_f64 v[26:27], v[167:168], s[42:43], -v[32:33]
	v_add_f64_e32 v[20:21], v[20:21], v[30:31]
	v_add_f64_e32 v[22:23], v[22:23], v[128:129]
	v_fma_f64 v[30:31], v[175:176], s[26:27], -v[124:125]
	s_delay_alu instid0(VALU_DEP_3) | instskip(SKIP_1) | instid1(VALU_DEP_4)
	v_add_f64_e32 v[20:21], v[24:25], v[20:21]
	v_fma_f64 v[24:25], v[189:190], s[10:11], v[126:127]
	v_add_f64_e32 v[22:23], v[26:27], v[22:23]
	v_fma_f64 v[26:27], v[183:184], s[10:11], -v[130:131]
	s_delay_alu instid0(VALU_DEP_4) | instskip(SKIP_1) | instid1(VALU_DEP_4)
	v_add_f64_e32 v[20:21], v[28:29], v[20:21]
	v_fma_f64 v[28:29], v[201:202], s[2:3], v[132:133]
	v_add_f64_e32 v[22:23], v[30:31], v[22:23]
	v_fma_f64 v[30:31], v[191:192], s[2:3], -v[134:135]
	s_delay_alu instid0(VALU_DEP_4) | instskip(SKIP_1) | instid1(VALU_DEP_4)
	;; [unrolled: 5-line block ×3, first 2 shown]
	v_add_f64_e32 v[20:21], v[28:29], v[20:21]
	v_fma_f64 v[28:29], v[215:216], s[36:37], v[140:141]
	v_add_f64_e32 v[22:23], v[30:31], v[22:23]
	v_fma_f64 v[30:31], v[209:210], s[36:37], -v[142:143]
	s_delay_alu instid0(VALU_DEP_4) | instskip(NEXT) | instid1(VALU_DEP_3)
	v_add_f64_e32 v[20:21], v[24:25], v[20:21]
	v_add_f64_e32 v[22:23], v[26:27], v[22:23]
	s_delay_alu instid0(VALU_DEP_2)
	v_add_f64_e32 v[126:127], v[28:29], v[20:21]
	s_clause 0x1
	scratch_load_b32 v20, off, off offset:132 th:TH_LOAD_LU
	scratch_load_b32 v21, off, off offset:4
	v_add_f64_e32 v[124:125], v[30:31], v[22:23]
	s_wait_loadcnt 0x1
	v_and_b32_e32 v20, 0xffff, v20
	s_wait_loadcnt 0x0
	s_delay_alu instid0(VALU_DEP_1)
	v_lshl_add_u32 v20, v20, 4, v21
	ds_store_b128 v20, v[116:119] offset:32
	ds_store_b128 v20, v[108:111] offset:48
	;; [unrolled: 1-line block ×15, first 2 shown]
	ds_store_b128 v20, v[0:3]
	ds_store_b128 v20, v[124:127] offset:256
.LBB0_17:
	s_wait_alu 0xfffe
	s_or_b32 exec_lo, exec_lo, s1
	global_wb scope:SCOPE_SE
	s_wait_dscnt 0x0
	s_barrier_signal -1
	s_barrier_wait -1
	global_inv scope:SCOPE_SE
	ds_load_b128 v[0:3], v225
	ds_load_b128 v[4:7], v225 offset:1088
	ds_load_b128 v[96:99], v225 offset:2992
	;; [unrolled: 1-line block ×7, first 2 shown]
	s_and_saveexec_b32 s1, s0
	s_cbranch_execz .LBB0_19
; %bb.18:
	ds_load_b128 v[152:155], v225 offset:2176
	ds_load_b128 v[156:159], v225 offset:5168
	;; [unrolled: 1-line block ×4, first 2 shown]
.LBB0_19:
	s_wait_alu 0xfffe
	s_or_b32 exec_lo, exec_lo, s1
	scratch_load_b128 v[108:111], off, off offset:96 th:TH_LOAD_LU ; 16-byte Folded Reload
	s_wait_dscnt 0x5
	v_mul_f64_e32 v[20:21], v[42:43], v[98:99]
	v_mul_f64_e32 v[22:23], v[42:43], v[96:97]
	s_wait_dscnt 0x3
	v_mul_f64_e32 v[24:25], v[38:39], v[102:103]
	v_mul_f64_e32 v[26:27], v[38:39], v[100:101]
	;; [unrolled: 1-line block ×4, first 2 shown]
	s_wait_dscnt 0x2
	v_mul_f64_e32 v[38:39], v[50:51], v[14:15]
	v_mul_f64_e32 v[42:43], v[50:51], v[12:13]
	s_wait_dscnt 0x0
	v_mul_f64_e32 v[50:51], v[46:47], v[18:19]
	v_mul_f64_e32 v[46:47], v[46:47], v[16:17]
	global_wb scope:SCOPE_SE
	s_wait_loadcnt 0x0
	s_barrier_signal -1
	s_barrier_wait -1
	global_inv scope:SCOPE_SE
	v_fma_f64 v[20:21], v[40:41], v[96:97], v[20:21]
	v_fma_f64 v[22:23], v[40:41], v[98:99], -v[22:23]
	v_fma_f64 v[24:25], v[36:37], v[100:101], v[24:25]
	v_fma_f64 v[26:27], v[36:37], v[102:103], -v[26:27]
	;; [unrolled: 2-line block ×5, first 2 shown]
	v_add_f64_e64 v[24:25], v[0:1], -v[24:25]
	v_add_f64_e64 v[26:27], v[2:3], -v[26:27]
	;; [unrolled: 1-line block ×6, first 2 shown]
	v_fma_f64 v[36:37], v[0:1], 2.0, -v[24:25]
	v_fma_f64 v[38:39], v[2:3], 2.0, -v[26:27]
	s_delay_alu instid0(VALU_DEP_3) | instskip(SKIP_2) | instid1(VALU_DEP_2)
	v_fma_f64 v[40:41], v[10:11], 2.0, -v[12:13]
	v_mul_f64_e32 v[28:29], v[110:111], v[106:107]
	v_mul_f64_e32 v[30:31], v[110:111], v[104:105]
	v_fma_f64 v[28:29], v[108:109], v[104:105], v[28:29]
	s_delay_alu instid0(VALU_DEP_2) | instskip(NEXT) | instid1(VALU_DEP_2)
	v_fma_f64 v[30:31], v[108:109], v[106:107], -v[30:31]
	v_add_f64_e64 v[28:29], v[20:21], -v[28:29]
	s_delay_alu instid0(VALU_DEP_2) | instskip(NEXT) | instid1(VALU_DEP_2)
	v_add_f64_e64 v[30:31], v[22:23], -v[30:31]
	v_fma_f64 v[14:15], v[20:21], 2.0, -v[28:29]
	s_delay_alu instid0(VALU_DEP_2)
	v_fma_f64 v[18:19], v[22:23], 2.0, -v[30:31]
	v_fma_f64 v[22:23], v[6:7], 2.0, -v[34:35]
	;; [unrolled: 1-line block ×4, first 2 shown]
	v_add_f64_e32 v[0:1], v[24:25], v[30:31]
	v_add_f64_e64 v[2:3], v[26:27], -v[28:29]
	v_add_f64_e32 v[4:5], v[32:33], v[12:13]
	v_add_f64_e64 v[8:9], v[36:37], -v[14:15]
	v_add_f64_e64 v[10:11], v[38:39], -v[18:19]
	;; [unrolled: 1-line block ×5, first 2 shown]
	v_fma_f64 v[16:17], v[24:25], 2.0, -v[0:1]
	v_fma_f64 v[18:19], v[26:27], 2.0, -v[2:3]
	v_fma_f64 v[32:33], v[32:33], 2.0, -v[4:5]
	v_fma_f64 v[36:37], v[36:37], 2.0, -v[8:9]
	v_fma_f64 v[38:39], v[38:39], 2.0, -v[10:11]
	v_fma_f64 v[42:43], v[22:23], 2.0, -v[14:15]
	ds_store_b128 v228, v[8:11] offset:544
	ds_store_b128 v228, v[0:3] offset:816
	ds_store_b128 v228, v[36:39]
	ds_store_b128 v228, v[16:19] offset:272
	scratch_load_b32 v0, off, off offset:120 th:TH_LOAD_LU ; 4-byte Folded Reload
	v_fma_f64 v[40:41], v[20:21], 2.0, -v[12:13]
	v_fma_f64 v[34:35], v[34:35], 2.0, -v[6:7]
	s_wait_loadcnt 0x0
	ds_store_b128 v0, v[40:43]
	ds_store_b128 v0, v[32:35] offset:272
	ds_store_b128 v0, v[12:15] offset:544
	;; [unrolled: 1-line block ×3, first 2 shown]
	s_and_saveexec_b32 s1, s0
	s_cbranch_execz .LBB0_21
; %bb.20:
	s_clause 0x2
	scratch_load_b128 v[16:19], off, off offset:152 th:TH_LOAD_LU
	scratch_load_b128 v[12:15], off, off offset:136 th:TH_LOAD_LU
	;; [unrolled: 1-line block ×3, first 2 shown]
	s_wait_loadcnt 0x2
	v_mul_f64_e32 v[0:1], v[18:19], v[148:149]
	s_wait_loadcnt 0x1
	v_mul_f64_e32 v[6:7], v[14:15], v[144:145]
	;; [unrolled: 2-line block ×3, first 2 shown]
	v_mul_f64_e32 v[4:5], v[22:23], v[156:157]
	v_mul_f64_e32 v[8:9], v[18:19], v[150:151]
	;; [unrolled: 1-line block ×3, first 2 shown]
	v_fma_f64 v[0:1], v[16:17], v[150:151], -v[0:1]
	v_fma_f64 v[6:7], v[12:13], v[146:147], -v[6:7]
	v_fma_f64 v[2:3], v[20:21], v[156:157], v[2:3]
	v_fma_f64 v[4:5], v[20:21], v[158:159], -v[4:5]
	v_fma_f64 v[8:9], v[16:17], v[148:149], v[8:9]
	v_fma_f64 v[10:11], v[12:13], v[144:145], v[10:11]
	v_add_f64_e64 v[12:13], v[154:155], -v[0:1]
	s_delay_alu instid0(VALU_DEP_4) | instskip(NEXT) | instid1(VALU_DEP_4)
	v_add_f64_e64 v[0:1], v[4:5], -v[6:7]
	v_add_f64_e64 v[8:9], v[152:153], -v[8:9]
	s_delay_alu instid0(VALU_DEP_4) | instskip(NEXT) | instid1(VALU_DEP_4)
	v_add_f64_e64 v[6:7], v[2:3], -v[10:11]
	v_fma_f64 v[14:15], v[154:155], 2.0, -v[12:13]
	s_delay_alu instid0(VALU_DEP_4) | instskip(NEXT) | instid1(VALU_DEP_4)
	v_fma_f64 v[4:5], v[4:5], 2.0, -v[0:1]
	v_fma_f64 v[16:17], v[152:153], 2.0, -v[8:9]
	s_delay_alu instid0(VALU_DEP_4) | instskip(SKIP_3) | instid1(VALU_DEP_4)
	v_fma_f64 v[10:11], v[2:3], 2.0, -v[6:7]
	v_add_f64_e64 v[2:3], v[12:13], -v[6:7]
	v_add_f64_e32 v[0:1], v[8:9], v[0:1]
	v_add_f64_e64 v[6:7], v[14:15], -v[4:5]
	v_add_f64_e64 v[4:5], v[16:17], -v[10:11]
	s_delay_alu instid0(VALU_DEP_4) | instskip(NEXT) | instid1(VALU_DEP_4)
	v_fma_f64 v[10:11], v[12:13], 2.0, -v[2:3]
	v_fma_f64 v[8:9], v[8:9], 2.0, -v[0:1]
	s_delay_alu instid0(VALU_DEP_4) | instskip(NEXT) | instid1(VALU_DEP_4)
	v_fma_f64 v[14:15], v[14:15], 2.0, -v[6:7]
	v_fma_f64 v[12:13], v[16:17], 2.0, -v[4:5]
	s_clause 0x1
	scratch_load_b32 v16, off, off offset:112 th:TH_LOAD_LU
	scratch_load_b32 v17, off, off offset:88 th:TH_LOAD_LU
	s_wait_loadcnt 0x1
	v_mul_u32_u24_e32 v16, 0x44, v16
	s_wait_loadcnt 0x0
	s_delay_alu instid0(VALU_DEP_1)
	v_add_nc_u32_e32 v16, v16, v17
	scratch_load_b32 v17, off, off offset:4 th:TH_LOAD_LU ; 4-byte Folded Reload
	s_wait_loadcnt 0x0
	v_lshl_add_u32 v16, v16, 4, v17
	ds_store_b128 v16, v[12:15]
	ds_store_b128 v16, v[8:11] offset:272
	ds_store_b128 v16, v[4:7] offset:544
	;; [unrolled: 1-line block ×3, first 2 shown]
.LBB0_21:
	s_wait_alu 0xfffe
	s_or_b32 exec_lo, exec_lo, s1
	global_wb scope:SCOPE_SE
	s_wait_dscnt 0x0
	s_barrier_signal -1
	s_barrier_wait -1
	global_inv scope:SCOPE_SE
	ds_load_b128 v[0:3], v225 offset:1088
	ds_load_b128 v[8:11], v225 offset:10880
	ds_load_b128 v[12:15], v225 offset:2176
	ds_load_b128 v[16:19], v225 offset:9792
	ds_load_b128 v[20:23], v225 offset:3264
	ds_load_b128 v[24:27], v225 offset:8704
	ds_load_b128 v[28:31], v225 offset:4352
	ds_load_b128 v[32:35], v225 offset:5440
	ds_load_b128 v[36:39], v225 offset:7616
	ds_load_b128 v[40:43], v225 offset:6528
	s_mov_b32 s0, 0xf8bb580b
	s_mov_b32 s2, 0x8764f0ba
	;; [unrolled: 1-line block ×14, first 2 shown]
	s_wait_dscnt 0x8
	v_mul_f64_e32 v[44:45], v[58:59], v[8:9]
	s_wait_dscnt 0x7
	v_mul_f64_e32 v[46:47], v[70:71], v[12:13]
	v_mul_f64_e32 v[4:5], v[66:67], v[2:3]
	;; [unrolled: 1-line block ×3, first 2 shown]
	s_wait_dscnt 0x6
	v_mul_f64_e32 v[48:49], v[62:63], v[16:17]
	v_mul_f64_e32 v[50:51], v[70:71], v[14:15]
	s_wait_dscnt 0x4
	v_mul_f64_e32 v[66:67], v[86:87], v[24:25]
	v_mul_f64_e32 v[70:71], v[78:79], v[22:23]
	;; [unrolled: 1-line block ×4, first 2 shown]
	s_wait_dscnt 0x1
	v_mul_f64_e32 v[96:97], v[82:83], v[38:39]
	v_mul_f64_e32 v[58:59], v[58:59], v[10:11]
	;; [unrolled: 1-line block ×5, first 2 shown]
	s_mov_b32 s27, 0xbfe82f19
	s_mov_b32 s29, 0xbfe4f49e
	;; [unrolled: 1-line block ×8, first 2 shown]
	s_wait_alu 0xfffe
	s_mov_b32 s8, s0
	s_mov_b32 s18, s10
	;; [unrolled: 1-line block ×8, first 2 shown]
	v_fma_f64 v[52:53], v[64:65], v[0:1], v[4:5]
	v_fma_f64 v[54:55], v[64:65], v[2:3], -v[6:7]
	ds_load_b128 v[0:3], v225
	v_mul_f64_e32 v[64:65], v[78:79], v[20:21]
	s_wait_dscnt 0x1
	v_mul_f64_e32 v[100:101], v[90:91], v[42:43]
	v_mul_f64_e32 v[90:91], v[90:91], v[40:41]
	v_fma_f64 v[4:5], v[56:57], v[10:11], -v[44:45]
	v_fma_f64 v[44:45], v[68:69], v[14:15], -v[46:47]
	;; [unrolled: 1-line block ×3, first 2 shown]
	v_fma_f64 v[18:19], v[68:69], v[12:13], v[50:51]
	v_mul_f64_e32 v[78:79], v[74:75], v[30:31]
	v_mul_f64_e32 v[74:75], v[74:75], v[28:29]
	v_fma_f64 v[12:13], v[84:85], v[26:27], -v[66:67]
	v_fma_f64 v[20:21], v[76:77], v[20:21], v[70:71]
	v_fma_f64 v[14:15], v[84:85], v[24:25], v[86:87]
	;; [unrolled: 1-line block ×5, first 2 shown]
	s_wait_dscnt 0x0
	v_add_f64_e32 v[46:47], v[0:1], v[52:53]
	v_add_f64_e32 v[48:49], v[2:3], v[54:55]
	v_fma_f64 v[22:23], v[76:77], v[22:23], -v[64:65]
	v_fma_f64 v[36:37], v[88:89], v[42:43], -v[90:91]
	v_add_f64_e64 v[42:43], v[44:45], -v[6:7]
	v_add_f64_e32 v[50:51], v[44:45], v[6:7]
	v_fma_f64 v[16:17], v[72:73], v[28:29], v[78:79]
	v_fma_f64 v[24:25], v[72:73], v[30:31], -v[74:75]
	v_fma_f64 v[28:29], v[80:81], v[38:39], -v[82:83]
	v_fma_f64 v[30:31], v[92:93], v[32:33], v[98:99]
	v_fma_f64 v[32:33], v[92:93], v[34:35], -v[94:95]
	v_fma_f64 v[34:35], v[88:89], v[40:41], v[100:101]
	v_add_f64_e64 v[38:39], v[54:55], -v[4:5]
	v_add_f64_e32 v[40:41], v[54:55], v[4:5]
	v_add_f64_e32 v[60:61], v[20:21], v[14:15]
	v_add_f64_e64 v[62:63], v[20:21], -v[14:15]
	v_add_f64_e32 v[56:57], v[52:53], v[8:9]
	v_add_f64_e64 v[52:53], v[52:53], -v[8:9]
	v_add_f64_e32 v[58:59], v[18:19], v[10:11]
	v_add_f64_e32 v[46:47], v[46:47], v[18:19]
	;; [unrolled: 1-line block ×3, first 2 shown]
	v_add_f64_e64 v[18:19], v[18:19], -v[10:11]
	v_add_f64_e64 v[48:49], v[22:23], -v[12:13]
	v_add_f64_e32 v[54:55], v[22:23], v[12:13]
	v_mul_f64_e32 v[96:97], s[10:11], v[42:43]
	v_mul_f64_e32 v[98:99], s[16:17], v[50:51]
	v_add_f64_e32 v[64:65], v[16:17], v[26:27]
	v_add_f64_e64 v[70:71], v[16:17], -v[26:27]
	v_add_f64_e32 v[66:67], v[24:25], v[28:29]
	v_add_f64_e64 v[68:69], v[24:25], -v[28:29]
	v_add_f64_e32 v[74:75], v[32:33], v[36:37]
	v_mul_f64_e32 v[100:101], s[26:27], v[42:43]
	v_mul_f64_e32 v[80:81], s[0:1], v[38:39]
	;; [unrolled: 1-line block ×12, first 2 shown]
	s_wait_alu 0xfffe
	v_mul_f64_e32 v[104:105], s[24:25], v[42:43]
	v_mul_f64_e32 v[106:107], s[22:23], v[50:51]
	v_add_f64_e32 v[72:73], v[30:31], v[34:35]
	v_add_f64_e64 v[76:77], v[30:31], -v[34:35]
	v_add_f64_e64 v[78:79], v[32:33], -v[36:37]
	v_add_f64_e32 v[20:21], v[46:47], v[20:21]
	v_add_f64_e32 v[22:23], v[44:45], v[22:23]
	v_mul_f64_e32 v[44:45], s[28:29], v[50:51]
	v_mul_f64_e32 v[46:47], s[38:39], v[42:43]
	;; [unrolled: 1-line block ×16, first 2 shown]
	v_fma_f64 v[156:157], v[56:57], s[16:17], v[84:85]
	v_fma_f64 v[158:159], v[52:53], s[18:19], v[86:87]
	v_fma_f64 v[84:85], v[56:57], s[16:17], -v[84:85]
	v_fma_f64 v[161:162], v[56:57], s[22:23], v[88:89]
	v_fma_f64 v[163:164], v[52:53], s[24:25], v[90:91]
	v_fma_f64 v[88:89], v[56:57], s[22:23], -v[88:89]
	;; [unrolled: 3-line block ×4, first 2 shown]
	v_fma_f64 v[40:41], v[52:53], s[34:35], v[40:41]
	v_fma_f64 v[94:95], v[52:53], s[26:27], v[94:95]
	;; [unrolled: 1-line block ×5, first 2 shown]
	v_fma_f64 v[100:101], v[58:59], s[28:29], -v[100:101]
	v_fma_f64 v[179:180], v[18:19], s[34:35], v[102:103]
	v_fma_f64 v[181:182], v[58:59], s[22:23], v[104:105]
	v_add_f64_e32 v[16:17], v[20:21], v[16:17]
	v_add_f64_e32 v[20:21], v[22:23], v[24:25]
	v_mul_f64_e32 v[22:23], s[22:23], v[74:75]
	v_fma_f64 v[24:25], v[56:57], s[2:3], v[80:81]
	v_fma_f64 v[74:75], v[52:53], s[8:9], v[82:83]
	v_fma_f64 v[80:81], v[56:57], s[2:3], -v[80:81]
	v_fma_f64 v[82:83], v[52:53], s[0:1], v[82:83]
	v_fma_f64 v[52:53], v[58:59], s[16:17], v[96:97]
	v_fma_f64 v[56:57], v[18:19], s[18:19], v[98:99]
	v_fma_f64 v[96:97], v[58:59], s[16:17], -v[96:97]
	v_fma_f64 v[98:99], v[18:19], s[10:11], v[98:99]
	;; [unrolled: 4-line block ×3, first 2 shown]
	v_mul_f64_e32 v[48:49], s[26:27], v[48:49]
	v_mul_f64_e32 v[54:55], s[28:29], v[54:55]
	v_fma_f64 v[104:105], v[58:59], s[22:23], -v[104:105]
	v_add_f64_e32 v[156:157], v[0:1], v[156:157]
	v_add_f64_e32 v[158:159], v[2:3], v[158:159]
	;; [unrolled: 1-line block ×11, first 2 shown]
	v_fma_f64 v[44:45], v[18:19], s[26:27], v[44:45]
	v_fma_f64 v[102:103], v[18:19], s[38:39], v[102:103]
	v_mul_f64_e32 v[124:125], s[26:27], v[68:69]
	v_add_f64_e32 v[90:91], v[2:3], v[90:91]
	v_add_f64_e32 v[86:87], v[2:3], v[86:87]
	v_mul_f64_e32 v[126:127], s[28:29], v[66:67]
	v_mul_f64_e32 v[128:129], s[24:25], v[68:69]
	;; [unrolled: 1-line block ×3, first 2 shown]
	v_fma_f64 v[185:186], v[60:61], s[36:37], v[112:113]
	v_add_f64_e32 v[16:17], v[16:17], v[30:31]
	v_add_f64_e32 v[20:21], v[20:21], v[32:33]
	v_fma_f64 v[30:31], v[18:19], s[24:25], v[106:107]
	v_add_f64_e32 v[24:25], v[0:1], v[24:25]
	v_fma_f64 v[32:33], v[58:59], s[2:3], v[42:43]
	v_add_f64_e32 v[80:81], v[0:1], v[80:81]
	v_add_f64_e32 v[82:83], v[2:3], v[82:83]
	v_fma_f64 v[106:107], v[18:19], s[0:1], v[50:51]
	v_fma_f64 v[42:43], v[58:59], s[2:3], -v[42:43]
	v_fma_f64 v[18:19], v[18:19], s[8:9], v[50:51]
	v_add_f64_e32 v[0:1], v[0:1], v[38:39]
	v_add_f64_e32 v[38:39], v[2:3], v[40:41]
	;; [unrolled: 1-line block ×4, first 2 shown]
	v_fma_f64 v[50:51], v[60:61], s[22:23], v[108:109]
	v_fma_f64 v[58:59], v[62:63], s[24:25], v[110:111]
	v_fma_f64 v[108:109], v[60:61], s[22:23], -v[108:109]
	v_fma_f64 v[110:111], v[62:63], s[20:21], v[110:111]
	v_fma_f64 v[187:188], v[62:63], s[34:35], v[114:115]
	v_mul_f64_e32 v[132:133], s[0:1], v[68:69]
	v_mul_f64_e32 v[134:135], s[2:3], v[66:67]
	v_fma_f64 v[189:190], v[60:61], s[16:17], v[116:117]
	v_fma_f64 v[191:192], v[62:63], s[10:11], v[118:119]
	v_add_f64_e32 v[84:85], v[100:101], v[84:85]
	v_add_f64_e32 v[100:101], v[179:180], v[163:164]
	v_mul_f64_e32 v[136:137], s[34:35], v[68:69]
	v_mul_f64_e32 v[138:139], s[36:37], v[66:67]
	v_add_f64_e32 v[46:47], v[46:47], v[88:89]
	v_add_f64_e32 v[88:89], v[181:182], v[165:166]
	v_mul_f64_e32 v[68:69], s[18:19], v[68:69]
	v_mul_f64_e32 v[66:67], s[16:17], v[66:67]
	v_fma_f64 v[116:117], v[60:61], s[16:17], -v[116:117]
	v_fma_f64 v[74:75], v[60:61], s[2:3], -v[120:121]
	v_fma_f64 v[94:95], v[62:63], s[0:1], v[122:123]
	v_add_f64_e32 v[92:93], v[104:105], v[92:93]
	v_fma_f64 v[118:119], v[62:63], s[18:19], v[118:119]
	v_fma_f64 v[112:113], v[60:61], s[36:37], -v[112:113]
	v_fma_f64 v[114:115], v[62:63], s[38:39], v[114:115]
	v_add_f64_e32 v[16:17], v[16:17], v[34:35]
	v_add_f64_e32 v[20:21], v[20:21], v[36:37]
	v_fma_f64 v[34:35], v[60:61], s[2:3], v[120:121]
	v_add_f64_e32 v[24:25], v[52:53], v[24:25]
	v_fma_f64 v[36:37], v[62:63], s[8:9], v[122:123]
	v_add_f64_e32 v[52:53], v[96:97], v[80:81]
	v_add_f64_e32 v[80:81], v[98:99], v[82:83]
	;; [unrolled: 1-line block ×6, first 2 shown]
	v_fma_f64 v[120:121], v[60:61], s[28:29], v[48:49]
	v_fma_f64 v[122:123], v[62:63], s[30:31], v[54:55]
	v_add_f64_e32 v[32:33], v[32:33], v[169:170]
	v_add_f64_e32 v[104:105], v[106:107], v[171:172]
	v_fma_f64 v[48:49], v[60:61], s[28:29], -v[48:49]
	v_fma_f64 v[54:55], v[62:63], s[26:27], v[54:55]
	v_add_f64_e32 v[0:1], v[42:43], v[0:1]
	v_add_f64_e32 v[18:19], v[18:19], v[38:39]
	v_add_f64_e32 v[30:31], v[30:31], v[40:41]
	v_add_f64_e32 v[38:39], v[102:103], v[90:91]
	v_add_f64_e32 v[40:41], v[44:45], v[86:87]
	v_add_f64_e32 v[2:3], v[56:57], v[2:3]
	v_mul_f64_e32 v[144:145], s[8:9], v[78:79]
	v_fma_f64 v[60:61], v[64:65], s[28:29], v[124:125]
	v_fma_f64 v[62:63], v[70:71], s[30:31], v[126:127]
	v_fma_f64 v[124:125], v[64:65], s[28:29], -v[124:125]
	v_fma_f64 v[126:127], v[70:71], s[26:27], v[126:127]
	v_fma_f64 v[193:194], v[64:65], s[22:23], v[128:129]
	;; [unrolled: 1-line block ×3, first 2 shown]
	v_mul_f64_e32 v[140:141], s[34:35], v[78:79]
	v_mul_f64_e32 v[148:149], s[26:27], v[78:79]
	;; [unrolled: 1-line block ×3, first 2 shown]
	v_fma_f64 v[56:57], v[64:65], s[36:37], v[136:137]
	v_fma_f64 v[86:87], v[70:71], s[38:39], v[138:139]
	v_mul_f64_e32 v[78:79], s[20:21], v[78:79]
	v_fma_f64 v[42:43], v[64:65], s[2:3], -v[132:133]
	v_fma_f64 v[90:91], v[64:65], s[36:37], -v[136:137]
	v_add_f64_e32 v[16:17], v[16:17], v[26:27]
	v_add_f64_e32 v[20:21], v[20:21], v[28:29]
	v_fma_f64 v[26:27], v[64:65], s[2:3], v[132:133]
	v_add_f64_e32 v[24:25], v[50:51], v[24:25]
	v_fma_f64 v[28:29], v[70:71], s[8:9], v[134:135]
	v_add_f64_e32 v[50:51], v[108:109], v[52:53]
	v_add_f64_e32 v[52:53], v[110:111], v[80:81]
	;; [unrolled: 1-line block ×8, first 2 shown]
	v_fma_f64 v[106:107], v[64:65], s[16:17], v[68:69]
	v_fma_f64 v[132:133], v[70:71], s[10:11], v[66:67]
	v_add_f64_e32 v[46:47], v[116:117], v[46:47]
	v_add_f64_e32 v[74:75], v[74:75], v[92:93]
	;; [unrolled: 1-line block ×4, first 2 shown]
	v_fma_f64 v[128:129], v[64:65], s[22:23], -v[128:129]
	v_fma_f64 v[64:65], v[64:65], s[16:17], -v[68:69]
	v_fma_f64 v[66:67], v[70:71], s[18:19], v[66:67]
	v_add_f64_e32 v[0:1], v[48:49], v[0:1]
	v_add_f64_e32 v[18:19], v[54:55], v[18:19]
	v_fma_f64 v[102:103], v[70:71], s[34:35], v[138:139]
	v_add_f64_e32 v[30:31], v[94:95], v[30:31]
	v_fma_f64 v[44:45], v[70:71], s[0:1], v[134:135]
	;; [unrolled: 2-line block ×3, first 2 shown]
	v_add_f64_e32 v[84:85], v[112:113], v[84:85]
	v_add_f64_e32 v[40:41], v[114:115], v[40:41]
	;; [unrolled: 1-line block ×3, first 2 shown]
	v_fma_f64 v[70:71], v[76:77], s[38:39], v[142:143]
	v_fma_f64 v[136:137], v[76:77], s[34:35], v[142:143]
	v_fma_f64 v[54:55], v[76:77], s[8:9], v[146:147]
	v_fma_f64 v[92:93], v[76:77], s[30:31], v[150:151]
	v_fma_f64 v[100:101], v[76:77], s[26:27], v[150:151]
	v_fma_f64 v[108:109], v[76:77], s[10:11], v[154:155]
	v_add_f64_e32 v[14:15], v[16:17], v[14:15]
	v_add_f64_e32 v[12:13], v[20:21], v[12:13]
	v_fma_f64 v[16:17], v[72:73], s[2:3], v[144:145]
	v_fma_f64 v[20:21], v[76:77], s[0:1], v[146:147]
	;; [unrolled: 1-line block ×5, first 2 shown]
	v_add_f64_e32 v[22:23], v[60:61], v[24:25]
	v_add_f64_e32 v[24:25], v[124:125], v[50:51]
	;; [unrolled: 1-line block ×5, first 2 shown]
	v_fma_f64 v[68:69], v[72:73], s[36:37], v[140:141]
	v_fma_f64 v[134:135], v[72:73], s[36:37], -v[140:141]
	v_fma_f64 v[58:59], v[72:73], s[28:29], v[148:149]
	v_add_f64_e32 v[26:27], v[26:27], v[96:97]
	v_add_f64_e32 v[28:29], v[28:29], v[98:99]
	v_fma_f64 v[104:105], v[72:73], s[16:17], v[152:153]
	v_add_f64_e32 v[34:35], v[56:57], v[34:35]
	v_add_f64_e32 v[36:37], v[86:87], v[36:37]
	;; [unrolled: 3-line block ×3, first 2 shown]
	v_add_f64_e32 v[56:57], v[106:107], v[32:33]
	v_add_f64_e32 v[74:75], v[132:133], v[88:89]
	v_fma_f64 v[48:49], v[72:73], s[2:3], -v[144:145]
	v_fma_f64 v[94:95], v[72:73], s[28:29], -v[148:149]
	;; [unrolled: 1-line block ×4, first 2 shown]
	v_add_f64_e32 v[64:65], v[64:65], v[0:1]
	v_add_f64_e32 v[66:67], v[66:67], v[18:19]
	;; [unrolled: 1-line block ×31, first 2 shown]
	ds_store_b128 v226, v[14:17] offset:2176
	ds_store_b128 v226, v[22:25] offset:3264
	;; [unrolled: 1-line block ×9, first 2 shown]
	ds_store_b128 v226, v[6:9]
	ds_store_b128 v226, v[0:3] offset:1088
	global_wb scope:SCOPE_SE
	s_wait_dscnt 0x0
	s_barrier_signal -1
	s_barrier_wait -1
	global_inv scope:SCOPE_SE
	s_and_b32 exec_lo, exec_lo, vcc_lo
	s_cbranch_execz .LBB0_23
; %bb.22:
	global_load_b128 v[0:3], v255, s[12:13]
	ds_load_b128 v[4:7], v226
	ds_load_b128 v[8:11], v226 offset:704
	s_mov_b32 s0, 0xb8d015e7
	s_mov_b32 s1, 0x3f55e75b
	s_mul_u64 s[2:3], s[4:5], 0x2c0
	s_wait_loadcnt_dscnt 0x1
	v_mul_f64_e32 v[12:13], v[6:7], v[2:3]
	v_mul_f64_e32 v[2:3], v[4:5], v[2:3]
	s_delay_alu instid0(VALU_DEP_2) | instskip(NEXT) | instid1(VALU_DEP_2)
	v_fma_f64 v[4:5], v[4:5], v[0:1], v[12:13]
	v_fma_f64 v[0:1], v[0:1], v[6:7], -v[2:3]
	v_mad_co_u64_u32 v[6:7], null, s6, v160, 0
	v_mad_co_u64_u32 v[12:13], null, s4, v227, 0
	s_wait_alu 0xfffe
	s_delay_alu instid0(VALU_DEP_4) | instskip(NEXT) | instid1(VALU_DEP_4)
	v_mul_f64_e32 v[2:3], s[0:1], v[4:5]
	v_mul_f64_e32 v[4:5], s[0:1], v[0:1]
	s_delay_alu instid0(VALU_DEP_3) | instskip(NEXT) | instid1(VALU_DEP_1)
	v_dual_mov_b32 v0, v7 :: v_dual_mov_b32 v1, v13
	v_mad_co_u64_u32 v[13:14], null, s7, v160, v[0:1]
	s_delay_alu instid0(VALU_DEP_1) | instskip(SKIP_1) | instid1(VALU_DEP_1)
	v_mov_b32_e32 v7, v13
	v_mad_co_u64_u32 v[0:1], null, s5, v227, v[1:2]
	v_mov_b32_e32 v13, v0
	s_delay_alu instid0(VALU_DEP_3) | instskip(NEXT) | instid1(VALU_DEP_2)
	v_lshlrev_b64_e32 v[0:1], 4, v[6:7]
	v_lshlrev_b64_e32 v[6:7], 4, v[12:13]
	s_delay_alu instid0(VALU_DEP_2) | instskip(NEXT) | instid1(VALU_DEP_3)
	v_add_co_u32 v0, vcc_lo, s14, v0
	v_add_co_ci_u32_e32 v1, vcc_lo, s15, v1, vcc_lo
	s_delay_alu instid0(VALU_DEP_2) | instskip(SKIP_1) | instid1(VALU_DEP_2)
	v_add_co_u32 v6, vcc_lo, v0, v6
	s_wait_alu 0xfffd
	v_add_co_ci_u32_e32 v7, vcc_lo, v1, v7, vcc_lo
	s_delay_alu instid0(VALU_DEP_2)
	v_add_co_u32 v14, vcc_lo, v6, s2
	global_store_b128 v[6:7], v[2:5], off
	global_load_b128 v[2:5], v255, s[12:13] offset:704
	s_wait_alu 0xfffd
	v_add_co_ci_u32_e32 v15, vcc_lo, s3, v7, vcc_lo
	s_wait_loadcnt_dscnt 0x0
	v_mul_f64_e32 v[12:13], v[10:11], v[4:5]
	v_mul_f64_e32 v[4:5], v[8:9], v[4:5]
	s_delay_alu instid0(VALU_DEP_2) | instskip(NEXT) | instid1(VALU_DEP_2)
	v_fma_f64 v[8:9], v[8:9], v[2:3], v[12:13]
	v_fma_f64 v[4:5], v[2:3], v[10:11], -v[4:5]
	s_delay_alu instid0(VALU_DEP_2) | instskip(NEXT) | instid1(VALU_DEP_2)
	v_mul_f64_e32 v[2:3], s[0:1], v[8:9]
	v_mul_f64_e32 v[4:5], s[0:1], v[4:5]
	global_store_b128 v[14:15], v[2:5], off
	global_load_b128 v[2:5], v255, s[12:13] offset:1408
	ds_load_b128 v[6:9], v226 offset:1408
	ds_load_b128 v[10:13], v226 offset:2112
	s_wait_loadcnt_dscnt 0x1
	v_mul_f64_e32 v[16:17], v[8:9], v[4:5]
	v_mul_f64_e32 v[4:5], v[6:7], v[4:5]
	s_delay_alu instid0(VALU_DEP_2) | instskip(NEXT) | instid1(VALU_DEP_2)
	v_fma_f64 v[6:7], v[6:7], v[2:3], v[16:17]
	v_fma_f64 v[4:5], v[2:3], v[8:9], -v[4:5]
	s_delay_alu instid0(VALU_DEP_2) | instskip(NEXT) | instid1(VALU_DEP_2)
	v_mul_f64_e32 v[2:3], s[0:1], v[6:7]
	v_mul_f64_e32 v[4:5], s[0:1], v[4:5]
	v_add_co_u32 v6, vcc_lo, v14, s2
	s_wait_alu 0xfffd
	v_add_co_ci_u32_e32 v7, vcc_lo, s3, v15, vcc_lo
	s_delay_alu instid0(VALU_DEP_2) | instskip(SKIP_1) | instid1(VALU_DEP_2)
	v_add_co_u32 v14, vcc_lo, v6, s2
	s_wait_alu 0xfffd
	v_add_co_ci_u32_e32 v15, vcc_lo, s3, v7, vcc_lo
	global_store_b128 v[6:7], v[2:5], off
	global_load_b128 v[2:5], v255, s[12:13] offset:2112
	s_wait_loadcnt_dscnt 0x0
	v_mul_f64_e32 v[8:9], v[12:13], v[4:5]
	v_mul_f64_e32 v[4:5], v[10:11], v[4:5]
	s_delay_alu instid0(VALU_DEP_2) | instskip(NEXT) | instid1(VALU_DEP_2)
	v_fma_f64 v[8:9], v[10:11], v[2:3], v[8:9]
	v_fma_f64 v[4:5], v[2:3], v[12:13], -v[4:5]
	s_delay_alu instid0(VALU_DEP_2) | instskip(NEXT) | instid1(VALU_DEP_2)
	v_mul_f64_e32 v[2:3], s[0:1], v[8:9]
	v_mul_f64_e32 v[4:5], s[0:1], v[4:5]
	global_store_b128 v[14:15], v[2:5], off
	global_load_b128 v[2:5], v255, s[12:13] offset:2816
	ds_load_b128 v[6:9], v226 offset:2816
	ds_load_b128 v[10:13], v226 offset:3520
	s_wait_loadcnt_dscnt 0x1
	v_mul_f64_e32 v[16:17], v[8:9], v[4:5]
	v_mul_f64_e32 v[4:5], v[6:7], v[4:5]
	s_delay_alu instid0(VALU_DEP_2) | instskip(NEXT) | instid1(VALU_DEP_2)
	v_fma_f64 v[6:7], v[6:7], v[2:3], v[16:17]
	v_fma_f64 v[4:5], v[2:3], v[8:9], -v[4:5]
	s_delay_alu instid0(VALU_DEP_2) | instskip(NEXT) | instid1(VALU_DEP_2)
	v_mul_f64_e32 v[2:3], s[0:1], v[6:7]
	v_mul_f64_e32 v[4:5], s[0:1], v[4:5]
	v_add_co_u32 v6, vcc_lo, v14, s2
	s_wait_alu 0xfffd
	v_add_co_ci_u32_e32 v7, vcc_lo, s3, v15, vcc_lo
	s_delay_alu instid0(VALU_DEP_2) | instskip(SKIP_1) | instid1(VALU_DEP_2)
	v_add_co_u32 v14, vcc_lo, v6, s2
	s_wait_alu 0xfffd
	v_add_co_ci_u32_e32 v15, vcc_lo, s3, v7, vcc_lo
	global_store_b128 v[6:7], v[2:5], off
	global_load_b128 v[2:5], v255, s[12:13] offset:3520
	;; [unrolled: 31-line block ×6, first 2 shown]
	s_wait_loadcnt_dscnt 0x0
	v_mul_f64_e32 v[8:9], v[12:13], v[4:5]
	v_mul_f64_e32 v[4:5], v[10:11], v[4:5]
	s_delay_alu instid0(VALU_DEP_2) | instskip(NEXT) | instid1(VALU_DEP_2)
	v_fma_f64 v[8:9], v[10:11], v[2:3], v[8:9]
	v_fma_f64 v[4:5], v[2:3], v[12:13], -v[4:5]
	s_delay_alu instid0(VALU_DEP_2) | instskip(NEXT) | instid1(VALU_DEP_2)
	v_mul_f64_e32 v[2:3], s[0:1], v[8:9]
	v_mul_f64_e32 v[4:5], s[0:1], v[4:5]
	global_store_b128 v[14:15], v[2:5], off
	global_load_b128 v[2:5], v255, s[12:13] offset:9856
	ds_load_b128 v[6:9], v226 offset:9856
	ds_load_b128 v[10:13], v226 offset:10560
	s_wait_loadcnt_dscnt 0x1
	v_mul_f64_e32 v[16:17], v[8:9], v[4:5]
	v_mul_f64_e32 v[4:5], v[6:7], v[4:5]
	s_delay_alu instid0(VALU_DEP_2) | instskip(NEXT) | instid1(VALU_DEP_2)
	v_fma_f64 v[6:7], v[6:7], v[2:3], v[16:17]
	v_fma_f64 v[4:5], v[2:3], v[8:9], -v[4:5]
	s_delay_alu instid0(VALU_DEP_2) | instskip(NEXT) | instid1(VALU_DEP_2)
	v_mul_f64_e32 v[2:3], s[0:1], v[6:7]
	v_mul_f64_e32 v[4:5], s[0:1], v[4:5]
	v_add_co_u32 v6, vcc_lo, v14, s2
	s_wait_alu 0xfffd
	v_add_co_ci_u32_e32 v7, vcc_lo, s3, v15, vcc_lo
	global_store_b128 v[6:7], v[2:5], off
	global_load_b128 v[2:5], v255, s[12:13] offset:10560
	v_add_co_u32 v6, vcc_lo, v6, s2
	s_wait_alu 0xfffd
	v_add_co_ci_u32_e32 v7, vcc_lo, s3, v7, vcc_lo
	s_wait_loadcnt_dscnt 0x0
	v_mul_f64_e32 v[8:9], v[12:13], v[4:5]
	v_mul_f64_e32 v[4:5], v[10:11], v[4:5]
	s_delay_alu instid0(VALU_DEP_2) | instskip(NEXT) | instid1(VALU_DEP_2)
	v_fma_f64 v[8:9], v[10:11], v[2:3], v[8:9]
	v_fma_f64 v[4:5], v[2:3], v[12:13], -v[4:5]
	s_delay_alu instid0(VALU_DEP_2) | instskip(NEXT) | instid1(VALU_DEP_2)
	v_mul_f64_e32 v[2:3], s[0:1], v[8:9]
	v_mul_f64_e32 v[4:5], s[0:1], v[4:5]
	global_store_b128 v[6:7], v[2:5], off
	global_load_b128 v[2:5], v255, s[12:13] offset:11264
	ds_load_b128 v[6:9], v226 offset:11264
	s_wait_loadcnt_dscnt 0x0
	v_mul_f64_e32 v[10:11], v[8:9], v[4:5]
	v_mul_f64_e32 v[4:5], v[6:7], v[4:5]
	s_delay_alu instid0(VALU_DEP_2) | instskip(SKIP_3) | instid1(VALU_DEP_2)
	v_fma_f64 v[6:7], v[6:7], v[2:3], v[10:11]
	scratch_load_b32 v10, off, off offset:128 th:TH_LOAD_LU ; 4-byte Folded Reload
	v_fma_f64 v[4:5], v[2:3], v[8:9], -v[4:5]
	v_mul_f64_e32 v[2:3], s[0:1], v[6:7]
	v_mul_f64_e32 v[4:5], s[0:1], v[4:5]
	s_wait_loadcnt 0x0
	v_mad_co_u64_u32 v[8:9], null, s4, v10, 0
	s_delay_alu instid0(VALU_DEP_1) | instskip(NEXT) | instid1(VALU_DEP_1)
	v_mov_b32_e32 v6, v9
	v_mad_co_u64_u32 v[6:7], null, s5, v10, v[6:7]
	s_delay_alu instid0(VALU_DEP_1) | instskip(NEXT) | instid1(VALU_DEP_1)
	v_mov_b32_e32 v9, v6
	v_lshlrev_b64_e32 v[6:7], 4, v[8:9]
	s_delay_alu instid0(VALU_DEP_1) | instskip(SKIP_1) | instid1(VALU_DEP_2)
	v_add_co_u32 v0, vcc_lo, v0, v6
	s_wait_alu 0xfffd
	v_add_co_ci_u32_e32 v1, vcc_lo, v1, v7, vcc_lo
	global_store_b128 v[0:1], v[2:5], off
.LBB0_23:
	s_nop 0
	s_sendmsg sendmsg(MSG_DEALLOC_VGPRS)
	s_endpgm
	.section	.rodata,"a",@progbits
	.p2align	6, 0x0
	.amdhsa_kernel bluestein_single_back_len748_dim1_dp_op_CI_CI
		.amdhsa_group_segment_fixed_size 35904
		.amdhsa_private_segment_fixed_size 588
		.amdhsa_kernarg_size 104
		.amdhsa_user_sgpr_count 2
		.amdhsa_user_sgpr_dispatch_ptr 0
		.amdhsa_user_sgpr_queue_ptr 0
		.amdhsa_user_sgpr_kernarg_segment_ptr 1
		.amdhsa_user_sgpr_dispatch_id 0
		.amdhsa_user_sgpr_private_segment_size 0
		.amdhsa_wavefront_size32 1
		.amdhsa_uses_dynamic_stack 0
		.amdhsa_enable_private_segment 1
		.amdhsa_system_sgpr_workgroup_id_x 1
		.amdhsa_system_sgpr_workgroup_id_y 0
		.amdhsa_system_sgpr_workgroup_id_z 0
		.amdhsa_system_sgpr_workgroup_info 0
		.amdhsa_system_vgpr_workitem_id 0
		.amdhsa_next_free_vgpr 256
		.amdhsa_next_free_sgpr 60
		.amdhsa_reserve_vcc 1
		.amdhsa_float_round_mode_32 0
		.amdhsa_float_round_mode_16_64 0
		.amdhsa_float_denorm_mode_32 3
		.amdhsa_float_denorm_mode_16_64 3
		.amdhsa_fp16_overflow 0
		.amdhsa_workgroup_processor_mode 1
		.amdhsa_memory_ordered 1
		.amdhsa_forward_progress 0
		.amdhsa_round_robin_scheduling 0
		.amdhsa_exception_fp_ieee_invalid_op 0
		.amdhsa_exception_fp_denorm_src 0
		.amdhsa_exception_fp_ieee_div_zero 0
		.amdhsa_exception_fp_ieee_overflow 0
		.amdhsa_exception_fp_ieee_underflow 0
		.amdhsa_exception_fp_ieee_inexact 0
		.amdhsa_exception_int_div_zero 0
	.end_amdhsa_kernel
	.text
.Lfunc_end0:
	.size	bluestein_single_back_len748_dim1_dp_op_CI_CI, .Lfunc_end0-bluestein_single_back_len748_dim1_dp_op_CI_CI
                                        ; -- End function
	.section	.AMDGPU.csdata,"",@progbits
; Kernel info:
; codeLenInByte = 25980
; NumSgprs: 62
; NumVgprs: 256
; ScratchSize: 588
; MemoryBound: 0
; FloatMode: 240
; IeeeMode: 1
; LDSByteSize: 35904 bytes/workgroup (compile time only)
; SGPRBlocks: 7
; VGPRBlocks: 31
; NumSGPRsForWavesPerEU: 62
; NumVGPRsForWavesPerEU: 256
; Occupancy: 5
; WaveLimiterHint : 1
; COMPUTE_PGM_RSRC2:SCRATCH_EN: 1
; COMPUTE_PGM_RSRC2:USER_SGPR: 2
; COMPUTE_PGM_RSRC2:TRAP_HANDLER: 0
; COMPUTE_PGM_RSRC2:TGID_X_EN: 1
; COMPUTE_PGM_RSRC2:TGID_Y_EN: 0
; COMPUTE_PGM_RSRC2:TGID_Z_EN: 0
; COMPUTE_PGM_RSRC2:TIDIG_COMP_CNT: 0
	.text
	.p2alignl 7, 3214868480
	.fill 96, 4, 3214868480
	.type	__hip_cuid_56641b613c71eb1e,@object ; @__hip_cuid_56641b613c71eb1e
	.section	.bss,"aw",@nobits
	.globl	__hip_cuid_56641b613c71eb1e
__hip_cuid_56641b613c71eb1e:
	.byte	0                               ; 0x0
	.size	__hip_cuid_56641b613c71eb1e, 1

	.ident	"AMD clang version 19.0.0git (https://github.com/RadeonOpenCompute/llvm-project roc-6.4.0 25133 c7fe45cf4b819c5991fe208aaa96edf142730f1d)"
	.section	".note.GNU-stack","",@progbits
	.addrsig
	.addrsig_sym __hip_cuid_56641b613c71eb1e
	.amdgpu_metadata
---
amdhsa.kernels:
  - .args:
      - .actual_access:  read_only
        .address_space:  global
        .offset:         0
        .size:           8
        .value_kind:     global_buffer
      - .actual_access:  read_only
        .address_space:  global
        .offset:         8
        .size:           8
        .value_kind:     global_buffer
      - .actual_access:  read_only
        .address_space:  global
        .offset:         16
        .size:           8
        .value_kind:     global_buffer
      - .actual_access:  read_only
        .address_space:  global
        .offset:         24
        .size:           8
        .value_kind:     global_buffer
      - .actual_access:  read_only
        .address_space:  global
        .offset:         32
        .size:           8
        .value_kind:     global_buffer
      - .offset:         40
        .size:           8
        .value_kind:     by_value
      - .address_space:  global
        .offset:         48
        .size:           8
        .value_kind:     global_buffer
      - .address_space:  global
        .offset:         56
        .size:           8
        .value_kind:     global_buffer
      - .address_space:  global
        .offset:         64
        .size:           8
        .value_kind:     global_buffer
      - .address_space:  global
        .offset:         72
        .size:           8
        .value_kind:     global_buffer
      - .offset:         80
        .size:           4
        .value_kind:     by_value
      - .address_space:  global
        .offset:         88
        .size:           8
        .value_kind:     global_buffer
      - .address_space:  global
        .offset:         96
        .size:           8
        .value_kind:     global_buffer
    .group_segment_fixed_size: 35904
    .kernarg_segment_align: 8
    .kernarg_segment_size: 104
    .language:       OpenCL C
    .language_version:
      - 2
      - 0
    .max_flat_workgroup_size: 204
    .name:           bluestein_single_back_len748_dim1_dp_op_CI_CI
    .private_segment_fixed_size: 588
    .sgpr_count:     62
    .sgpr_spill_count: 0
    .symbol:         bluestein_single_back_len748_dim1_dp_op_CI_CI.kd
    .uniform_work_group_size: 1
    .uses_dynamic_stack: false
    .vgpr_count:     256
    .vgpr_spill_count: 235
    .wavefront_size: 32
    .workgroup_processor_mode: 1
amdhsa.target:   amdgcn-amd-amdhsa--gfx1201
amdhsa.version:
  - 1
  - 2
...

	.end_amdgpu_metadata
